;; amdgpu-corpus repo=ROCm/rocFFT kind=compiled arch=gfx950 opt=O3
	.text
	.amdgcn_target "amdgcn-amd-amdhsa--gfx950"
	.amdhsa_code_object_version 6
	.protected	bluestein_single_back_len1440_dim1_dp_op_CI_CI ; -- Begin function bluestein_single_back_len1440_dim1_dp_op_CI_CI
	.globl	bluestein_single_back_len1440_dim1_dp_op_CI_CI
	.p2align	8
	.type	bluestein_single_back_len1440_dim1_dp_op_CI_CI,@function
bluestein_single_back_len1440_dim1_dp_op_CI_CI: ; @bluestein_single_back_len1440_dim1_dp_op_CI_CI
; %bb.0:
	s_load_dwordx4 s[4:7], s[0:1], 0x28
	v_mul_u32_u24_e32 v1, 0x2d9, v0
	v_mov_b32_e32 v59, 0
	v_add_u32_sdwa v6, s2, v1 dst_sel:DWORD dst_unused:UNUSED_PAD src0_sel:DWORD src1_sel:WORD_1
	v_mov_b32_e32 v7, v59
	s_waitcnt lgkmcnt(0)
	v_cmp_gt_u64_e32 vcc, s[4:5], v[6:7]
	s_and_saveexec_b64 s[2:3], vcc
	s_cbranch_execz .LBB0_31
; %bb.1:
	s_load_dwordx4 s[12:15], s[0:1], 0x18
	s_load_dwordx2 s[16:17], s[0:1], 0x0
	s_movk_i32 s2, 0x5a
	v_mul_lo_u16_sdwa v1, v1, s2 dst_sel:DWORD dst_unused:UNUSED_PAD src0_sel:WORD_1 src1_sel:DWORD
	v_sub_u16_e32 v58, v0, v1
	s_waitcnt lgkmcnt(0)
	s_load_dwordx4 s[8:11], s[12:13], 0x0
	v_accvgpr_write_b32 a2, v6
	v_mov_b32_e32 v2, s6
	v_mov_b32_e32 v3, s7
	v_lshlrev_b32_e32 v22, 4, v58
	s_waitcnt lgkmcnt(0)
	v_mad_u64_u32 v[0:1], s[2:3], s10, v6, 0
	v_mov_b32_e32 v4, v1
	v_mad_u64_u32 v[4:5], s[2:3], s11, v6, v[4:5]
	v_mov_b32_e32 v1, v4
	v_mad_u64_u32 v[4:5], s[2:3], s8, v58, 0
	v_mov_b32_e32 v6, v5
	v_mad_u64_u32 v[6:7], s[2:3], s9, v58, v[6:7]
	s_mul_i32 s2, s9, 0x90
	s_mul_hi_u32 s3, s8, 0x90
	v_mov_b32_e32 v5, v6
	v_lshl_add_u64 v[12:13], v[0:1], 4, v[2:3]
	s_add_i32 s3, s3, s2
	s_mul_i32 s2, s8, 0x90
	v_lshl_add_u64 v[8:9], v[4:5], 4, v[12:13]
	v_mov_b32_e32 v23, v59
	s_lshl_b64 s[12:13], s[2:3], 4
	v_lshl_add_u64 v[20:21], s[16:17], 0, v[22:23]
	v_lshl_add_u64 v[10:11], v[8:9], 0, s[12:13]
	s_movk_i32 s2, 0x1000
	global_load_dwordx4 v[4:7], v[8:9], off
	global_load_dwordx4 v[0:3], v[10:11], off
	global_load_dwordx4 v[84:87], v22, s[16:17]
	global_load_dwordx4 v[60:63], v22, s[16:17] offset:2304
	v_lshl_add_u64 v[14:15], v[10:11], 0, s[12:13]
	v_add_co_u32_e32 v16, vcc, s2, v20
	global_load_dwordx4 v[8:11], v[14:15], off
	s_nop 0
	v_addc_co_u32_e32 v17, vcc, 0, v21, vcc
	v_lshl_add_u64 v[14:15], v[14:15], 0, s[12:13]
	s_movk_i32 s2, 0x2000
	v_lshl_add_u64 v[24:25], v[14:15], 0, s[12:13]
	v_add_co_u32_e32 v18, vcc, s2, v20
	global_load_dwordx4 v[80:83], v[16:17], off offset:512
	global_load_dwordx4 v[64:67], v[16:17], off offset:2816
	global_load_dwordx4 v[26:29], v[14:15], off
	global_load_dwordx4 v[30:33], v[24:25], off
	v_addc_co_u32_e32 v19, vcc, 0, v21, vcc
	v_lshl_add_u64 v[14:15], v[24:25], 0, s[12:13]
	s_movk_i32 s2, 0x3000
	v_or_b32_e32 v23, 0x480, v58
	global_load_dwordx4 v[34:37], v[14:15], off
	global_load_dwordx4 v[92:95], v[18:19], off offset:1024
	global_load_dwordx4 v[68:71], v[18:19], off offset:3328
	v_lshl_add_u64 v[24:25], v[14:15], 0, s[12:13]
	v_add_co_u32_e32 v14, vcc, s2, v20
	v_mad_u64_u32 v[46:47], s[2:3], s8, v23, 0
	v_mov_b32_e32 v48, v47
	v_mad_u64_u32 v[48:49], s[2:3], s9, v23, v[48:49]
	v_mov_b32_e32 v47, v48
	global_load_dwordx4 v[38:41], v[24:25], off
	v_lshl_add_u64 v[24:25], v[24:25], 0, s[12:13]
	v_lshl_add_u64 v[12:13], v[46:47], 4, v[12:13]
	v_addc_co_u32_e32 v15, vcc, 0, v21, vcc
	global_load_dwordx4 v[42:45], v[24:25], off
	global_load_dwordx4 v[96:99], v[14:15], off offset:1536
	global_load_dwordx4 v[76:79], v[14:15], off offset:3840
	global_load_dwordx4 v[46:49], v[12:13], off
	v_lshlrev_b32_e32 v12, 4, v23
	v_accvgpr_write_b32 a45, v12
	global_load_dwordx4 v[72:75], v12, s[16:17]
	v_mov_b32_e32 v12, 0x1200
	v_mad_u64_u32 v[24:25], s[2:3], s8, v12, v[24:25]
	s_mul_i32 s2, s9, 0x1200
	s_nop 0
	v_add_u32_e32 v25, s2, v25
	s_movk_i32 s2, 0x5000
	v_add_co_u32_e32 v12, vcc, s2, v20
	v_accvgpr_write_b32 a0, v58
	s_nop 0
	v_addc_co_u32_e32 v13, vcc, 0, v21, vcc
	global_load_dwordx4 v[88:91], v[12:13], off offset:256
	global_load_dwordx4 v[50:53], v[24:25], off
	s_load_dwordx2 s[10:11], s[0:1], 0x38
	s_load_dwordx4 s[4:7], s[14:15], 0x0
	v_accvgpr_write_b32 a3, v23
	v_accvgpr_write_b32 a1, v59
	v_cmp_gt_u16_e32 vcc, 54, v58
	s_waitcnt vmcnt(17)
	v_mul_f64 v[54:55], v[6:7], v[86:87]
	v_mul_f64 v[56:57], v[4:5], v[86:87]
	v_fmac_f64_e32 v[54:55], v[4:5], v[84:85]
	s_waitcnt vmcnt(16)
	v_mul_f64 v[4:5], v[2:3], v[62:63]
	v_fmac_f64_e32 v[4:5], v[0:1], v[60:61]
	v_mul_f64 v[0:1], v[0:1], v[62:63]
	v_fma_f64 v[56:57], v[6:7], v[84:85], -v[56:57]
	v_fma_f64 v[6:7], v[2:3], v[60:61], -v[0:1]
	v_accvgpr_write_b32 a28, v84
	v_accvgpr_write_b32 a4, v60
	;; [unrolled: 1-line block ×4, first 2 shown]
	s_waitcnt vmcnt(14)
	v_mul_f64 v[0:1], v[10:11], v[82:83]
	v_mul_f64 v[2:3], v[8:9], v[82:83]
	v_fmac_f64_e32 v[0:1], v[8:9], v[80:81]
	v_fma_f64 v[2:3], v[10:11], v[80:81], -v[2:3]
	ds_write_b128 v22, v[0:3] offset:4608
	s_waitcnt vmcnt(12)
	v_mul_f64 v[0:1], v[28:29], v[66:67]
	v_mul_f64 v[2:3], v[26:27], v[66:67]
	v_fmac_f64_e32 v[0:1], v[26:27], v[64:65]
	v_fma_f64 v[2:3], v[28:29], v[64:65], -v[2:3]
	ds_write_b128 v22, v[0:3] offset:6912
	s_waitcnt vmcnt(9)
	v_mul_f64 v[0:1], v[32:33], v[94:95]
	v_mul_f64 v[2:3], v[30:31], v[94:95]
	v_fmac_f64_e32 v[0:1], v[30:31], v[92:93]
	v_fma_f64 v[2:3], v[32:33], v[92:93], -v[2:3]
	ds_write_b128 v22, v[0:3] offset:9216
	s_waitcnt vmcnt(8)
	v_mul_f64 v[0:1], v[36:37], v[70:71]
	v_mul_f64 v[2:3], v[34:35], v[70:71]
	v_fmac_f64_e32 v[0:1], v[34:35], v[68:69]
	v_fma_f64 v[2:3], v[36:37], v[68:69], -v[2:3]
	ds_write_b128 v22, v[0:3] offset:11520
	v_accvgpr_write_b32 a24, v80
	v_accvgpr_write_b32 a8, v64
	s_waitcnt vmcnt(5)
	v_mul_f64 v[0:1], v[40:41], v[98:99]
	v_mul_f64 v[2:3], v[38:39], v[98:99]
	v_fmac_f64_e32 v[0:1], v[38:39], v[96:97]
	v_fma_f64 v[2:3], v[40:41], v[96:97], -v[2:3]
	ds_write_b128 v22, v[0:3] offset:13824
	s_waitcnt vmcnt(4)
	v_mul_f64 v[0:1], v[44:45], v[78:79]
	v_mul_f64 v[2:3], v[42:43], v[78:79]
	v_fmac_f64_e32 v[0:1], v[42:43], v[76:77]
	v_fma_f64 v[2:3], v[44:45], v[76:77], -v[2:3]
	ds_write_b128 v22, v[0:3] offset:16128
	s_waitcnt vmcnt(2)
	v_mul_f64 v[0:1], v[48:49], v[74:75]
	v_mul_f64 v[2:3], v[46:47], v[74:75]
	v_fmac_f64_e32 v[0:1], v[46:47], v[72:73]
	v_fma_f64 v[2:3], v[48:49], v[72:73], -v[2:3]
	v_accvgpr_write_b32 a36, v92
	v_accvgpr_write_b32 a12, v68
	;; [unrolled: 1-line block ×5, first 2 shown]
	ds_write_b128 v22, v[0:3] offset:18432
	s_waitcnt vmcnt(0)
	v_mul_f64 v[0:1], v[52:53], v[90:91]
	v_mul_f64 v[2:3], v[50:51], v[90:91]
	v_accvgpr_write_b32 a32, v88
	v_accvgpr_write_b32 a31, v87
	;; [unrolled: 1-line block ×26, first 2 shown]
	v_fmac_f64_e32 v[0:1], v[50:51], v[88:89]
	v_accvgpr_write_b32 a33, v89
	v_accvgpr_write_b32 a34, v90
	;; [unrolled: 1-line block ×3, first 2 shown]
	v_fma_f64 v[2:3], v[52:53], v[88:89], -v[2:3]
	ds_write_b128 v22, v[54:57]
	ds_write_b128 v22, v[4:7] offset:2304
	ds_write_b128 v22, v[0:3] offset:20736
	s_and_saveexec_b64 s[14:15], vcc
	s_cbranch_execz .LBB0_3
; %bb.2:
	v_mov_b32_e32 v0, 0xffffb4a0
	v_mad_u64_u32 v[24:25], s[2:3], s8, v0, v[24:25]
	s_mul_i32 s2, s9, 0xffffb4a0
	s_sub_i32 s2, s2, s8
	v_add_u32_e32 v25, s2, v25
	global_load_dwordx4 v[0:3], v[24:25], off
	global_load_dwordx4 v[4:7], v[20:21], off offset:1440
	v_lshl_add_u64 v[24:25], v[24:25], 0, s[12:13]
	s_movk_i32 s2, 0x4000
	s_waitcnt vmcnt(0)
	v_mul_f64 v[8:9], v[2:3], v[6:7]
	v_fmac_f64_e32 v[8:9], v[0:1], v[4:5]
	v_mul_f64 v[0:1], v[0:1], v[6:7]
	v_fma_f64 v[10:11], v[2:3], v[4:5], -v[0:1]
	ds_write_b128 v22, v[8:11] offset:1440
	global_load_dwordx4 v[0:3], v[24:25], off
	global_load_dwordx4 v[4:7], v[20:21], off offset:3744
	v_lshl_add_u64 v[24:25], v[24:25], 0, s[12:13]
	s_waitcnt vmcnt(0)
	v_mul_f64 v[8:9], v[2:3], v[6:7]
	v_fmac_f64_e32 v[8:9], v[0:1], v[4:5]
	v_mul_f64 v[0:1], v[0:1], v[6:7]
	v_fma_f64 v[10:11], v[2:3], v[4:5], -v[0:1]
	ds_write_b128 v22, v[8:11] offset:3744
	global_load_dwordx4 v[0:3], v[24:25], off
	global_load_dwordx4 v[4:7], v[16:17], off offset:1952
	v_lshl_add_u64 v[16:17], v[24:25], 0, s[12:13]
	;; [unrolled: 9-line block ×6, first 2 shown]
	v_add_co_u32_e64 v16, s[2:3], s2, v20
	s_waitcnt vmcnt(0)
	v_mul_f64 v[8:9], v[2:3], v[6:7]
	v_fmac_f64_e32 v[8:9], v[0:1], v[4:5]
	v_mul_f64 v[0:1], v[0:1], v[6:7]
	v_addc_co_u32_e64 v17, s[2:3], 0, v21, s[2:3]
	v_fma_f64 v[10:11], v[2:3], v[4:5], -v[0:1]
	global_load_dwordx4 v[0:3], v[14:15], off
	global_load_dwordx4 v[4:7], v[16:17], off offset:1184
	ds_write_b128 v22, v[8:11] offset:15264
	v_lshl_add_u64 v[14:15], v[14:15], 0, s[12:13]
	s_waitcnt vmcnt(0)
	v_mul_f64 v[8:9], v[2:3], v[6:7]
	v_fmac_f64_e32 v[8:9], v[0:1], v[4:5]
	v_mul_f64 v[0:1], v[0:1], v[6:7]
	v_fma_f64 v[10:11], v[2:3], v[4:5], -v[0:1]
	ds_write_b128 v22, v[8:11] offset:17568
	global_load_dwordx4 v[0:3], v[14:15], off
	global_load_dwordx4 v[4:7], v[16:17], off offset:3488
	s_waitcnt vmcnt(0)
	v_mul_f64 v[8:9], v[2:3], v[6:7]
	v_fmac_f64_e32 v[8:9], v[0:1], v[4:5]
	v_mul_f64 v[0:1], v[0:1], v[6:7]
	v_fma_f64 v[10:11], v[2:3], v[4:5], -v[0:1]
	ds_write_b128 v22, v[8:11] offset:19872
	v_lshl_add_u64 v[8:9], v[14:15], 0, s[12:13]
	global_load_dwordx4 v[0:3], v[8:9], off
	global_load_dwordx4 v[4:7], v[12:13], off offset:1696
	s_waitcnt vmcnt(0)
	v_mul_f64 v[8:9], v[2:3], v[6:7]
	v_fmac_f64_e32 v[8:9], v[0:1], v[4:5]
	v_mul_f64 v[0:1], v[0:1], v[6:7]
	v_fma_f64 v[10:11], v[2:3], v[4:5], -v[0:1]
	ds_write_b128 v22, v[8:11] offset:22176
.LBB0_3:
	s_or_b64 exec, exec, s[14:15]
	s_waitcnt lgkmcnt(0)
	s_barrier
	ds_read_b128 v[48:51], v22
	ds_read_b128 v[60:63], v22 offset:2304
	ds_read_b128 v[0:3], v22 offset:4608
	;; [unrolled: 1-line block ×9, first 2 shown]
	s_load_dwordx2 s[8:9], s[0:1], 0x8
                                        ; implicit-def: $vgpr64_vgpr65
                                        ; implicit-def: $vgpr72_vgpr73
                                        ; implicit-def: $vgpr76_vgpr77
                                        ; implicit-def: $vgpr80_vgpr81
                                        ; implicit-def: $vgpr84_vgpr85
                                        ; implicit-def: $vgpr68_vgpr69
                                        ; implicit-def: $vgpr56_vgpr57
                                        ; implicit-def: $vgpr52_vgpr53
                                        ; implicit-def: $vgpr44_vgpr45
                                        ; implicit-def: $vgpr40_vgpr41
	s_and_saveexec_b64 s[0:1], vcc
	s_cbranch_execz .LBB0_5
; %bb.4:
	ds_read_b128 v[40:43], v22 offset:1440
	ds_read_b128 v[44:47], v22 offset:3744
	;; [unrolled: 1-line block ×10, first 2 shown]
.LBB0_5:
	s_or_b64 exec, exec, s[0:1]
	v_accvgpr_read_b32 v127, a1
	s_mov_b64 s[0:1], 0x5a
	v_accvgpr_read_b32 v126, a0
	v_lshl_add_u64 v[184:185], v[126:127], 0, s[0:1]
	s_waitcnt lgkmcnt(0)
	v_add_f64 v[14:15], v[104:105], v[4:5]
	s_mov_b32 s0, 0x134454ff
	v_fma_f64 v[14:15], -0.5, v[14:15], v[48:49]
	v_add_f64 v[16:17], v[2:3], -v[10:11]
	s_mov_b32 s1, 0x3fee6f0e
	s_mov_b32 s2, 0x4755a5e
	;; [unrolled: 1-line block ×4, first 2 shown]
	v_fma_f64 v[18:19], s[0:1], v[16:17], v[14:15]
	v_add_f64 v[24:25], v[106:107], -v[6:7]
	s_mov_b32 s3, 0x3fe2cf23
	v_add_f64 v[26:27], v[0:1], -v[104:105]
	v_add_f64 v[28:29], v[8:9], -v[4:5]
	s_mov_b32 s12, 0x372fe950
	v_fmac_f64_e32 v[14:15], s[14:15], v[16:17]
	s_mov_b32 s19, 0xbfe2cf23
	s_mov_b32 s18, s2
	v_fmac_f64_e32 v[18:19], s[2:3], v[24:25]
	v_add_f64 v[26:27], v[26:27], v[28:29]
	s_mov_b32 s13, 0x3fd3c6ef
	v_fmac_f64_e32 v[14:15], s[18:19], v[24:25]
	v_fmac_f64_e32 v[18:19], s[12:13], v[26:27]
	;; [unrolled: 1-line block ×3, first 2 shown]
	v_add_f64 v[26:27], v[0:1], v[8:9]
	v_add_f64 v[12:13], v[48:49], v[0:1]
	v_fmac_f64_e32 v[48:49], -0.5, v[26:27]
	v_add_f64 v[12:13], v[12:13], v[104:105]
	v_fma_f64 v[26:27], s[14:15], v[24:25], v[48:49]
	v_add_f64 v[28:29], v[104:105], -v[0:1]
	v_add_f64 v[30:31], v[4:5], -v[8:9]
	v_fmac_f64_e32 v[48:49], s[0:1], v[24:25]
	v_add_f64 v[24:25], v[106:107], v[6:7]
	v_add_f64 v[12:13], v[12:13], v[4:5]
	v_fmac_f64_e32 v[26:27], s[2:3], v[16:17]
	v_add_f64 v[28:29], v[28:29], v[30:31]
	v_fmac_f64_e32 v[48:49], s[18:19], v[16:17]
	v_fma_f64 v[24:25], -0.5, v[24:25], v[50:51]
	v_add_f64 v[0:1], v[0:1], -v[8:9]
	v_add_f64 v[12:13], v[12:13], v[8:9]
	v_fmac_f64_e32 v[26:27], s[12:13], v[28:29]
	v_fmac_f64_e32 v[48:49], s[12:13], v[28:29]
	v_fma_f64 v[28:29], s[14:15], v[0:1], v[24:25]
	v_add_f64 v[4:5], v[104:105], -v[4:5]
	v_add_f64 v[8:9], v[2:3], -v[106:107]
	v_add_f64 v[30:31], v[10:11], -v[6:7]
	v_fmac_f64_e32 v[24:25], s[0:1], v[0:1]
	v_fmac_f64_e32 v[28:29], s[18:19], v[4:5]
	v_add_f64 v[8:9], v[8:9], v[30:31]
	v_fmac_f64_e32 v[24:25], s[2:3], v[4:5]
	v_fmac_f64_e32 v[28:29], s[12:13], v[8:9]
	;; [unrolled: 1-line block ×3, first 2 shown]
	v_add_f64 v[8:9], v[2:3], v[10:11]
	v_add_f64 v[16:17], v[50:51], v[2:3]
	v_fmac_f64_e32 v[50:51], -0.5, v[8:9]
	v_fma_f64 v[30:31], s[0:1], v[4:5], v[50:51]
	v_fmac_f64_e32 v[50:51], s[14:15], v[4:5]
	v_fmac_f64_e32 v[30:31], s[18:19], v[0:1]
	;; [unrolled: 1-line block ×3, first 2 shown]
	v_add_f64 v[0:1], v[60:61], v[88:89]
	v_add_f64 v[16:17], v[16:17], v[106:107]
	;; [unrolled: 1-line block ×4, first 2 shown]
	v_add_f64 v[2:3], v[106:107], -v[2:3]
	v_add_f64 v[6:7], v[6:7], -v[10:11]
	v_add_f64 v[0:1], v[0:1], v[96:97]
	v_add_f64 v[2:3], v[2:3], v[6:7]
	;; [unrolled: 1-line block ×4, first 2 shown]
	v_fmac_f64_e32 v[30:31], s[12:13], v[2:3]
	v_fmac_f64_e32 v[50:51], s[12:13], v[2:3]
	v_fma_f64 v[2:3], -0.5, v[0:1], v[60:61]
	v_add_f64 v[0:1], v[90:91], -v[102:103]
	v_add_f64 v[16:17], v[16:17], v[10:11]
	v_fma_f64 v[6:7], s[0:1], v[0:1], v[2:3]
	v_add_f64 v[4:5], v[94:95], -v[98:99]
	v_add_f64 v[8:9], v[88:89], -v[92:93]
	;; [unrolled: 1-line block ×3, first 2 shown]
	v_fmac_f64_e32 v[2:3], s[14:15], v[0:1]
	v_fmac_f64_e32 v[6:7], s[2:3], v[4:5]
	v_add_f64 v[8:9], v[8:9], v[10:11]
	v_fmac_f64_e32 v[2:3], s[18:19], v[4:5]
	v_fmac_f64_e32 v[6:7], s[12:13], v[8:9]
	;; [unrolled: 1-line block ×3, first 2 shown]
	v_add_f64 v[8:9], v[88:89], v[100:101]
	v_fmac_f64_e32 v[60:61], -0.5, v[8:9]
	v_fma_f64 v[34:35], s[14:15], v[4:5], v[60:61]
	v_fmac_f64_e32 v[60:61], s[0:1], v[4:5]
	v_fmac_f64_e32 v[34:35], s[2:3], v[0:1]
	;; [unrolled: 1-line block ×3, first 2 shown]
	v_add_f64 v[0:1], v[62:63], v[90:91]
	v_add_f64 v[0:1], v[0:1], v[94:95]
	;; [unrolled: 1-line block ×3, first 2 shown]
	v_add_f64 v[8:9], v[92:93], -v[88:89]
	v_add_f64 v[10:11], v[96:97], -v[100:101]
	v_add_f64 v[36:37], v[0:1], v[102:103]
	v_add_f64 v[0:1], v[94:95], v[98:99]
	;; [unrolled: 1-line block ×3, first 2 shown]
	v_fma_f64 v[38:39], -0.5, v[0:1], v[62:63]
	v_add_f64 v[0:1], v[88:89], -v[100:101]
	v_fmac_f64_e32 v[34:35], s[12:13], v[8:9]
	v_fmac_f64_e32 v[60:61], s[12:13], v[8:9]
	v_fma_f64 v[88:89], s[14:15], v[0:1], v[38:39]
	v_add_f64 v[4:5], v[92:93], -v[96:97]
	v_add_f64 v[8:9], v[90:91], -v[94:95]
	;; [unrolled: 1-line block ×3, first 2 shown]
	v_fmac_f64_e32 v[38:39], s[0:1], v[0:1]
	v_fmac_f64_e32 v[88:89], s[18:19], v[4:5]
	v_add_f64 v[8:9], v[8:9], v[10:11]
	v_fmac_f64_e32 v[38:39], s[2:3], v[4:5]
	v_fmac_f64_e32 v[88:89], s[12:13], v[8:9]
	;; [unrolled: 1-line block ×3, first 2 shown]
	v_add_f64 v[8:9], v[90:91], v[102:103]
	v_fmac_f64_e32 v[62:63], -0.5, v[8:9]
	v_fma_f64 v[92:93], s[0:1], v[4:5], v[62:63]
	v_add_f64 v[8:9], v[94:95], -v[90:91]
	v_add_f64 v[10:11], v[98:99], -v[102:103]
	v_fmac_f64_e32 v[62:63], s[14:15], v[4:5]
	v_add_f64 v[8:9], v[8:9], v[10:11]
	v_fmac_f64_e32 v[62:63], s[2:3], v[0:1]
	s_mov_b32 s20, 0x9b97f4a8
	v_fmac_f64_e32 v[92:93], s[18:19], v[0:1]
	v_fmac_f64_e32 v[62:63], s[12:13], v[8:9]
	s_mov_b32 s21, 0x3fe9e377
	v_mul_f64 v[0:1], v[60:61], s[12:13]
	v_fma_f64 v[106:107], v[62:63], s[0:1], -v[0:1]
	v_mul_f64 v[0:1], v[2:3], s[20:21]
	v_fmac_f64_e32 v[92:93], s[12:13], v[8:9]
	v_fma_f64 v[110:111], v[38:39], s[2:3], -v[0:1]
	v_mul_f64 v[38:39], v[38:39], s[20:21]
	v_add_f64 v[8:9], v[12:13], v[32:33]
	v_mul_f64 v[90:91], v[6:7], s[20:21]
	v_mul_f64 v[94:95], v[92:93], s[0:1]
	v_fma_f64 v[38:39], v[2:3], s[18:19], -v[38:39]
	v_add_f64 v[104:105], v[12:13], -v[32:33]
	v_add_f64 v[12:13], v[72:73], v[68:69]
	v_fmac_f64_e32 v[90:91], s[2:3], v[88:89]
	v_fmac_f64_e32 v[94:95], s[12:13], v[34:35]
	v_add_f64 v[0:1], v[14:15], v[110:111]
	v_add_f64 v[2:3], v[24:25], v[38:39]
	v_add_f64 v[120:121], v[14:15], -v[110:111]
	v_add_f64 v[122:123], v[24:25], -v[38:39]
	v_fma_f64 v[14:15], -0.5, v[12:13], v[40:41]
	v_add_f64 v[24:25], v[54:55], -v[82:83]
	v_add_f64 v[96:97], v[18:19], v[90:91]
	v_add_f64 v[100:101], v[26:27], v[94:95]
	;; [unrolled: 1-line block ×4, first 2 shown]
	v_add_f64 v[108:109], v[18:19], -v[90:91]
	v_add_f64 v[112:113], v[26:27], -v[94:95]
	;; [unrolled: 1-line block ×4, first 2 shown]
	v_fma_f64 v[12:13], s[0:1], v[24:25], v[14:15]
	v_add_f64 v[26:27], v[70:71], -v[74:75]
	v_add_f64 v[16:17], v[52:53], -v[68:69]
	;; [unrolled: 1-line block ×3, first 2 shown]
	v_fmac_f64_e32 v[14:15], s[14:15], v[24:25]
	v_fmac_f64_e32 v[12:13], s[2:3], v[26:27]
	v_add_f64 v[16:17], v[18:19], v[16:17]
	v_fmac_f64_e32 v[14:15], s[18:19], v[26:27]
	v_fmac_f64_e32 v[12:13], s[12:13], v[16:17]
	;; [unrolled: 1-line block ×3, first 2 shown]
	v_add_f64 v[16:17], v[80:81], v[52:53]
	v_mul_f64 v[114:115], v[6:7], s[18:19]
	v_mul_f64 v[34:35], v[34:35], s[14:15]
	v_fma_f64 v[18:19], -0.5, v[16:17], v[40:41]
	v_fmac_f64_e32 v[114:115], s[20:21], v[88:89]
	v_fmac_f64_e32 v[34:35], s[12:13], v[92:93]
	v_fma_f64 v[16:17], s[14:15], v[26:27], v[18:19]
	v_fmac_f64_e32 v[18:19], s[0:1], v[26:27]
	v_add_f64 v[98:99], v[28:29], v[114:115]
	v_add_f64 v[102:103], v[30:31], v[34:35]
	v_add_f64 v[110:111], v[28:29], -v[114:115]
	v_add_f64 v[114:115], v[30:31], -v[34:35]
	v_fmac_f64_e32 v[16:17], s[2:3], v[24:25]
	v_add_f64 v[28:29], v[68:69], -v[52:53]
	v_add_f64 v[30:31], v[72:73], -v[80:81]
	v_fmac_f64_e32 v[18:19], s[18:19], v[24:25]
	v_add_f64 v[24:25], v[74:75], v[70:71]
	v_add_f64 v[28:29], v[30:31], v[28:29]
	v_fma_f64 v[30:31], -0.5, v[24:25], v[42:43]
	v_add_f64 v[24:25], v[52:53], -v[80:81]
	v_fmac_f64_e32 v[16:17], s[12:13], v[28:29]
	v_fmac_f64_e32 v[18:19], s[12:13], v[28:29]
	v_fma_f64 v[28:29], s[14:15], v[24:25], v[30:31]
	v_add_f64 v[26:27], v[68:69], -v[72:73]
	v_add_f64 v[32:33], v[54:55], -v[70:71]
	;; [unrolled: 1-line block ×3, first 2 shown]
	v_fmac_f64_e32 v[30:31], s[0:1], v[24:25]
	v_fmac_f64_e32 v[28:29], s[18:19], v[26:27]
	v_add_f64 v[32:33], v[34:35], v[32:33]
	v_fmac_f64_e32 v[30:31], s[2:3], v[26:27]
	v_fmac_f64_e32 v[28:29], s[12:13], v[32:33]
	;; [unrolled: 1-line block ×3, first 2 shown]
	v_add_f64 v[32:33], v[82:83], v[54:55]
	v_fma_f64 v[90:91], -0.5, v[32:33], v[42:43]
	v_fma_f64 v[88:89], s[0:1], v[26:27], v[90:91]
	v_fmac_f64_e32 v[90:91], s[14:15], v[26:27]
	v_fmac_f64_e32 v[88:89], s[18:19], v[24:25]
	v_add_f64 v[32:33], v[70:71], -v[54:55]
	v_add_f64 v[34:35], v[74:75], -v[82:83]
	v_fmac_f64_e32 v[90:91], s[2:3], v[24:25]
	v_add_f64 v[24:25], v[64:65], v[76:77]
	v_add_f64 v[32:33], v[34:35], v[32:33]
	v_fma_f64 v[48:49], -0.5, v[24:25], v[44:45]
	v_add_f64 v[24:25], v[58:59], -v[86:87]
	v_fmac_f64_e32 v[88:89], s[12:13], v[32:33]
	v_fmac_f64_e32 v[90:91], s[12:13], v[32:33]
	v_fma_f64 v[38:39], s[0:1], v[24:25], v[48:49]
	v_add_f64 v[26:27], v[66:67], -v[78:79]
	v_add_f64 v[32:33], v[56:57], -v[64:65]
	;; [unrolled: 1-line block ×3, first 2 shown]
	v_fmac_f64_e32 v[48:49], s[14:15], v[24:25]
	v_mul_f64 v[6:7], v[62:63], s[12:13]
	v_fmac_f64_e32 v[38:39], s[2:3], v[26:27]
	v_add_f64 v[32:33], v[34:35], v[32:33]
	v_fmac_f64_e32 v[48:49], s[18:19], v[26:27]
	v_fma_f64 v[60:61], v[60:61], s[14:15], -v[6:7]
	v_fmac_f64_e32 v[38:39], s[12:13], v[32:33]
	v_fmac_f64_e32 v[48:49], s[12:13], v[32:33]
	v_add_f64 v[32:33], v[84:85], v[56:57]
	v_add_f64 v[6:7], v[50:51], v[60:61]
	v_add_f64 v[118:119], v[50:51], -v[60:61]
	v_fma_f64 v[50:51], -0.5, v[32:33], v[44:45]
	v_fma_f64 v[60:61], s[14:15], v[26:27], v[50:51]
	v_fmac_f64_e32 v[50:51], s[0:1], v[26:27]
	v_fmac_f64_e32 v[60:61], s[2:3], v[24:25]
	v_add_f64 v[32:33], v[64:65], -v[56:57]
	v_add_f64 v[34:35], v[76:77], -v[84:85]
	v_fmac_f64_e32 v[50:51], s[18:19], v[24:25]
	v_add_f64 v[24:25], v[66:67], v[78:79]
	v_add_f64 v[32:33], v[34:35], v[32:33]
	v_fma_f64 v[62:63], -0.5, v[24:25], v[46:47]
	v_add_f64 v[24:25], v[56:57], -v[84:85]
	v_fmac_f64_e32 v[60:61], s[12:13], v[32:33]
	v_fmac_f64_e32 v[50:51], s[12:13], v[32:33]
	v_fma_f64 v[92:93], s[14:15], v[24:25], v[62:63]
	v_add_f64 v[26:27], v[64:65], -v[76:77]
	v_add_f64 v[32:33], v[58:59], -v[66:67]
	v_add_f64 v[34:35], v[86:87], -v[78:79]
	v_fmac_f64_e32 v[62:63], s[0:1], v[24:25]
	v_fmac_f64_e32 v[92:93], s[18:19], v[26:27]
	v_add_f64 v[32:33], v[34:35], v[32:33]
	v_fmac_f64_e32 v[62:63], s[2:3], v[26:27]
	v_fmac_f64_e32 v[92:93], s[12:13], v[32:33]
	;; [unrolled: 1-line block ×3, first 2 shown]
	v_add_f64 v[32:33], v[86:87], v[58:59]
	v_fma_f64 v[94:95], -0.5, v[32:33], v[46:47]
	v_fma_f64 v[124:125], s[0:1], v[26:27], v[94:95]
	v_add_f64 v[32:33], v[66:67], -v[58:59]
	v_add_f64 v[34:35], v[78:79], -v[86:87]
	v_fmac_f64_e32 v[94:95], s[14:15], v[26:27]
	v_fmac_f64_e32 v[124:125], s[18:19], v[24:25]
	v_add_f64 v[32:33], v[34:35], v[32:33]
	v_fmac_f64_e32 v[94:95], s[2:3], v[24:25]
	v_fmac_f64_e32 v[124:125], s[12:13], v[32:33]
	;; [unrolled: 1-line block ×3, first 2 shown]
	v_mul_f64 v[24:25], v[50:51], s[12:13]
	v_mul_f64 v[32:33], v[92:93], s[2:3]
	;; [unrolled: 1-line block ×3, first 2 shown]
	v_fma_f64 v[26:27], v[94:95], s[0:1], -v[24:25]
	v_mul_f64 v[24:25], v[48:49], s[20:21]
	v_fmac_f64_e32 v[32:33], s[20:21], v[38:39]
	v_fmac_f64_e32 v[34:35], s[12:13], v[60:61]
	v_fma_f64 v[36:37], v[62:63], s[2:3], -v[24:25]
	v_mul_f64 v[38:39], v[38:39], s[18:19]
	v_mul_f64 v[24:25], v[60:61], s[14:15]
	;; [unrolled: 1-line block ×3, first 2 shown]
	v_mul_lo_u16_e32 v23, 10, v126
	v_fmac_f64_e32 v[38:39], s[20:21], v[92:93]
	v_fma_f64 v[92:93], v[50:51], s[14:15], -v[60:61]
	v_mul_f64 v[50:51], v[62:63], s[20:21]
	v_lshlrev_b32_e32 v23, 4, v23
	v_fmac_f64_e32 v[24:25], s[12:13], v[124:125]
	v_fma_f64 v[94:95], v[48:49], s[18:19], -v[50:51]
	s_barrier
	ds_write_b128 v23, v[8:11]
	ds_write_b128 v23, v[96:99] offset:16
	ds_write_b128 v23, v[100:103] offset:32
	;; [unrolled: 1-line block ×9, first 2 shown]
	v_mul_u32_u24_e32 v0, 10, v184
	v_add_f64 v[156:157], v[12:13], -v[32:33]
	v_add_f64 v[160:161], v[16:17], -v[34:35]
	;; [unrolled: 1-line block ×8, first 2 shown]
	v_accvgpr_write_b32 a44, v0
	s_and_saveexec_b64 s[0:1], vcc
	s_cbranch_execz .LBB0_7
; %bb.6:
	v_add_f64 v[0:1], v[54:55], v[42:43]
	v_add_f64 v[0:1], v[70:71], v[0:1]
	;; [unrolled: 1-line block ×15, first 2 shown]
	v_add_f64 v[2:3], v[4:5], -v[8:9]
	v_add_f64 v[44:45], v[84:85], v[0:1]
	v_add_f64 v[42:43], v[8:9], v[4:5]
	;; [unrolled: 1-line block ×4, first 2 shown]
	v_accvgpr_read_b32 v12, a44
	v_add_f64 v[0:1], v[40:41], -v[44:45]
	v_add_f64 v[40:41], v[44:45], v[40:41]
	v_lshlrev_b32_e32 v12, 4, v12
	v_add_f64 v[6:7], v[30:31], v[94:95]
	v_add_f64 v[10:11], v[90:91], v[92:93]
	;; [unrolled: 1-line block ×6, first 2 shown]
	ds_write_b128 v12, v[40:43]
	ds_write_b128 v12, v[36:39] offset:16
	ds_write_b128 v12, v[28:31] offset:32
	;; [unrolled: 1-line block ×9, first 2 shown]
.LBB0_7:
	s_or_b64 exec, exec, s[0:1]
	v_accvgpr_read_b32 v137, a1
	s_movk_i32 s0, 0xcd
	v_accvgpr_read_b32 v136, a0
	v_mul_lo_u16_sdwa v0, v136, s0 dst_sel:DWORD dst_unused:UNUSED_PAD src0_sel:BYTE_0 src1_sel:DWORD
	v_lshrrev_b16_e32 v0, 11, v0
	v_mul_lo_u16_e32 v1, 10, v0
	v_sub_u16_e32 v1, v136, v1
	v_and_b32_e32 v1, 0xff, v1
	s_movk_i32 s0, 0xf0
	v_mov_b64_e32 v[2:3], s[8:9]
	v_mad_u64_u32 v[2:3], s[0:1], v1, s0, v[2:3]
	s_waitcnt lgkmcnt(0)
	s_barrier
	global_load_dwordx4 v[146:149], v[2:3], off
	global_load_dwordx4 v[142:145], v[2:3], off offset:16
	global_load_dwordx4 v[138:141], v[2:3], off offset:32
	;; [unrolled: 1-line block ×14, first 2 shown]
	ds_read_b128 v[2:5], v22
	ds_read_b128 v[6:9], v22 offset:1440
	ds_read_b128 v[10:13], v22 offset:2880
	;; [unrolled: 1-line block ×15, first 2 shown]
	s_mov_b32 s0, 0x667f3bcd
	s_mov_b32 s1, 0xbfe6a09e
	;; [unrolled: 1-line block ×12, first 2 shown]
	v_mul_u32_u24_e32 v0, 0xa0, v0
	v_or_b32_e32 v0, v0, v1
	s_waitcnt lgkmcnt(0)
	s_barrier
	s_waitcnt vmcnt(14)
	v_mul_f64 v[56:57], v[6:7], v[148:149]
	s_waitcnt vmcnt(13)
	v_mul_f64 v[64:65], v[10:11], v[144:145]
	;; [unrolled: 2-line block ×9, first 2 shown]
	v_mul_f64 v[78:79], v[34:35], v[170:171]
	v_mul_f64 v[82:83], v[38:39], v[166:167]
	;; [unrolled: 1-line block ×4, first 2 shown]
	s_waitcnt vmcnt(5)
	v_mul_f64 v[96:97], v[52:53], v[188:189]
	s_waitcnt vmcnt(4)
	v_mul_f64 v[128:129], v[108:109], v[182:183]
	v_fmac_f64_e32 v[80:81], v[34:35], v[168:169]
	v_fmac_f64_e32 v[84:85], v[38:39], v[164:165]
	;; [unrolled: 1-line block ×4, first 2 shown]
	s_waitcnt vmcnt(3)
	v_mul_f64 v[34:35], v[112:113], v[178:179]
	s_waitcnt vmcnt(2)
	v_mul_f64 v[38:39], v[116:117], v[106:107]
	;; [unrolled: 2-line block ×4, first 2 shown]
	v_mul_f64 v[58:59], v[12:13], v[144:145]
	v_mul_f64 v[66:67], v[16:17], v[140:141]
	;; [unrolled: 1-line block ×5, first 2 shown]
	v_fmac_f64_e32 v[56:57], v[8:9], v[146:147]
	v_fmac_f64_e32 v[64:65], v[12:13], v[142:143]
	;; [unrolled: 1-line block ×11, first 2 shown]
	v_mul_f64 v[18:19], v[8:9], v[148:149]
	v_mul_f64 v[98:99], v[110:111], v[182:183]
	v_fma_f64 v[8:9], v[10:11], v[142:143], -v[58:59]
	v_fma_f64 v[10:11], v[14:15], v[138:139], -v[66:67]
	;; [unrolled: 1-line block ×5, first 2 shown]
	v_add_f64 v[52:53], v[4:5], -v[88:89]
	v_add_f64 v[34:35], v[72:73], -v[34:35]
	;; [unrolled: 1-line block ×8, first 2 shown]
	v_mul_f64 v[130:131], v[114:115], v[178:179]
	v_fma_f64 v[6:7], v[6:7], v[146:147], -v[18:19]
	v_fma_f64 v[18:19], v[36:37], v[164:165], -v[82:83]
	v_fma_f64 v[24:25], v[40:41], v[150:151], -v[86:87]
	v_fma_f64 v[26:27], v[44:45], v[190:191], -v[90:91]
	v_fma_f64 v[30:31], v[108:109], v[180:181], -v[98:99]
	v_mul_f64 v[36:37], v[118:119], v[106:107]
	v_mul_f64 v[40:41], v[122:123], v[102:103]
	;; [unrolled: 1-line block ×3, first 2 shown]
	v_fma_f64 v[4:5], v[4:5], 2.0, -v[52:53]
	v_fma_f64 v[54:55], v[72:73], 2.0, -v[34:35]
	;; [unrolled: 1-line block ×8, first 2 shown]
	v_fma_f64 v[16:17], v[32:33], v[168:169], -v[78:79]
	v_fma_f64 v[32:33], v[112:113], v[176:177], -v[130:131]
	;; [unrolled: 1-line block ×5, first 2 shown]
	v_add_f64 v[24:25], v[2:3], -v[24:25]
	v_add_f64 v[28:29], v[8:9], -v[28:29]
	;; [unrolled: 1-line block ×12, first 2 shown]
	v_fma_f64 v[4:5], v[4:5], 2.0, -v[54:55]
	v_add_f64 v[34:35], v[24:25], -v[34:35]
	v_fma_f64 v[64:65], v[64:65], 2.0, -v[66:67]
	v_add_f64 v[42:43], v[28:29], -v[42:43]
	;; [unrolled: 2-line block ×4, first 2 shown]
	v_fma_f64 v[2:3], v[2:3], 2.0, -v[24:25]
	v_fma_f64 v[12:13], v[12:13], 2.0, -v[32:33]
	;; [unrolled: 1-line block ×8, first 2 shown]
	v_add_f64 v[32:33], v[52:53], v[32:33]
	v_fma_f64 v[24:25], v[24:25], 2.0, -v[34:35]
	v_add_f64 v[40:41], v[58:59], v[40:41]
	v_fma_f64 v[28:29], v[28:29], 2.0, -v[42:43]
	;; [unrolled: 2-line block ×4, first 2 shown]
	v_add_f64 v[64:65], v[4:5], -v[64:65]
	v_add_f64 v[68:69], v[56:57], -v[68:69]
	v_fma_f64 v[52:53], v[52:53], 2.0, -v[32:33]
	v_fma_f64 v[58:59], v[58:59], 2.0, -v[40:41]
	v_fma_f64 v[70:71], v[70:71], 2.0, -v[36:37]
	v_fma_f64 v[74:75], v[74:75], 2.0, -v[44:45]
	v_fma_f64 v[80:81], v[4:5], 2.0, -v[64:65]
	v_fma_f64 v[82:83], s[0:1], v[28:29], v[24:25]
	v_fma_f64 v[4:5], v[56:57], 2.0, -v[68:69]
	v_fma_f64 v[56:57], s[0:1], v[30:31], v[26:27]
	v_add_f64 v[16:17], v[8:9], -v[16:17]
	v_add_f64 v[14:15], v[6:7], -v[14:15]
	;; [unrolled: 1-line block ×3, first 2 shown]
	v_fma_f64 v[84:85], s[0:1], v[58:59], v[52:53]
	v_fmac_f64_e32 v[82:83], s[0:1], v[58:59]
	v_fma_f64 v[88:89], s[2:3], v[40:41], v[32:33]
	v_fma_f64 v[92:93], s[0:1], v[74:75], v[70:71]
	v_fmac_f64_e32 v[56:57], s[0:1], v[74:75]
	v_add_f64 v[12:13], v[2:3], -v[12:13]
	v_fma_f64 v[8:9], v[8:9], 2.0, -v[16:17]
	v_fma_f64 v[6:7], v[6:7], 2.0, -v[14:15]
	;; [unrolled: 1-line block ×3, first 2 shown]
	v_fmac_f64_e32 v[84:85], s[2:3], v[28:29]
	v_fma_f64 v[24:25], v[24:25], 2.0, -v[82:83]
	v_add_f64 v[58:59], v[54:55], v[16:17]
	v_fmac_f64_e32 v[88:89], s[2:3], v[42:43]
	v_fmac_f64_e32 v[92:93], s[2:3], v[30:31]
	v_fma_f64 v[16:17], v[26:27], 2.0, -v[56:57]
	v_add_f64 v[18:19], v[72:73], v[18:19]
	v_fma_f64 v[28:29], v[52:53], 2.0, -v[84:85]
	v_add_f64 v[52:53], v[12:13], -v[66:67]
	v_fma_f64 v[86:87], s[2:3], v[42:43], v[34:35]
	v_fma_f64 v[42:43], v[32:33], 2.0, -v[88:89]
	v_add_f64 v[90:91], v[6:7], -v[10:11]
	v_fma_f64 v[26:27], v[70:71], 2.0, -v[92:93]
	v_add_f64 v[70:71], v[14:15], -v[76:77]
	v_fma_f64 v[32:33], v[72:73], 2.0, -v[18:19]
	v_fma_f64 v[72:73], s[2:3], v[46:47], v[38:39]
	v_fma_f64 v[74:75], s[2:3], v[44:45], v[36:37]
	;; [unrolled: 1-line block ×3, first 2 shown]
	v_fma_f64 v[2:3], v[2:3], 2.0, -v[12:13]
	v_fma_f64 v[66:67], v[12:13], 2.0, -v[52:53]
	v_fmac_f64_e32 v[86:87], s[0:1], v[40:41]
	v_fma_f64 v[30:31], v[14:15], 2.0, -v[70:71]
	v_fmac_f64_e32 v[72:73], s[0:1], v[44:45]
	v_fmac_f64_e32 v[74:75], s[2:3], v[46:47]
	;; [unrolled: 1-line block ×3, first 2 shown]
	v_add_f64 v[78:79], v[2:3], -v[8:9]
	v_fma_f64 v[54:55], v[54:55], 2.0, -v[58:59]
	v_fma_f64 v[40:41], v[34:35], 2.0, -v[86:87]
	;; [unrolled: 1-line block ×5, first 2 shown]
	v_fma_f64 v[24:25], s[0:1], v[30:31], v[66:67]
	v_fma_f64 v[8:9], v[2:3], 2.0, -v[78:79]
	v_fma_f64 v[2:3], v[6:7], 2.0, -v[90:91]
	v_fma_f64 v[12:13], s[14:15], v[26:27], v[28:29]
	v_fma_f64 v[26:27], s[0:1], v[32:33], v[54:55]
	v_fmac_f64_e32 v[24:25], s[0:1], v[32:33]
	v_fma_f64 v[32:33], s[12:13], v[38:39], v[40:41]
	v_fma_f64 v[34:35], s[12:13], v[36:37], v[42:43]
	v_fma_f64 v[116:117], s[2:3], v[70:71], v[52:53]
	v_add_f64 v[2:3], v[8:9], -v[2:3]
	v_add_f64 v[4:5], v[80:81], -v[4:5]
	v_fmac_f64_e32 v[12:13], s[18:19], v[16:17]
	v_fmac_f64_e32 v[32:33], s[14:15], v[36:37]
	;; [unrolled: 1-line block ×3, first 2 shown]
	v_fma_f64 v[108:109], s[18:19], v[56:57], v[82:83]
	v_fma_f64 v[110:111], s[18:19], v[92:93], v[84:85]
	;; [unrolled: 1-line block ×3, first 2 shown]
	v_fmac_f64_e32 v[116:117], s[0:1], v[18:19]
	v_fma_f64 v[216:217], s[20:21], v[72:73], v[86:87]
	v_fma_f64 v[218:219], s[20:21], v[74:75], v[88:89]
	v_accvgpr_write_b32 a58, v146
	v_accvgpr_write_b32 a54, v142
	;; [unrolled: 1-line block ×10, first 2 shown]
	v_fma_f64 v[6:7], v[8:9], 2.0, -v[2:3]
	v_fma_f64 v[8:9], v[80:81], 2.0, -v[4:5]
	;; [unrolled: 1-line block ×3, first 2 shown]
	v_fmac_f64_e32 v[26:27], s[2:3], v[30:31]
	v_fma_f64 v[36:37], v[40:41], 2.0, -v[32:33]
	v_fma_f64 v[38:39], v[42:43], 2.0, -v[34:35]
	v_add_f64 v[40:41], v[78:79], -v[68:69]
	v_add_f64 v[42:43], v[64:65], v[90:91]
	v_fmac_f64_e32 v[108:109], s[14:15], v[92:93]
	v_fmac_f64_e32 v[110:111], s[20:21], v[56:57]
	;; [unrolled: 1-line block ×3, first 2 shown]
	v_fma_f64 v[120:121], v[52:53], 2.0, -v[116:117]
	v_fmac_f64_e32 v[216:217], s[12:13], v[74:75]
	v_fmac_f64_e32 v[218:219], s[18:19], v[72:73]
	v_lshlrev_b32_e32 v52, 4, v0
	v_accvgpr_write_b32 a59, v147
	v_accvgpr_write_b32 a60, v148
	;; [unrolled: 1-line block ×30, first 2 shown]
	v_fma_f64 v[28:29], v[66:67], 2.0, -v[24:25]
	v_fma_f64 v[30:31], v[54:55], 2.0, -v[26:27]
	;; [unrolled: 1-line block ×9, first 2 shown]
	ds_write_b128 v52, v[6:9]
	ds_write_b128 v52, v[14:17] offset:160
	ds_write_b128 v52, v[28:31] offset:320
	;; [unrolled: 1-line block ×15, first 2 shown]
	s_waitcnt lgkmcnt(0)
	s_barrier
	ds_read_b128 v[180:183], v22
	ds_read_b128 v[176:179], v22 offset:1440
	ds_read_b128 v[12:15], v22 offset:15360
	;; [unrolled: 1-line block ×14, first 2 shown]
	v_accvgpr_write_b32 a90, v190
	v_accvgpr_write_b32 a86, v186
	;; [unrolled: 1-line block ×12, first 2 shown]
	v_cmp_gt_u16_e64 s[0:1], 30, v136
	s_and_saveexec_b64 s[2:3], s[0:1]
	s_cbranch_execz .LBB0_9
; %bb.8:
	ds_read_b128 v[216:219], v22 offset:7200
	ds_read_b128 v[156:159], v22 offset:14880
	;; [unrolled: 1-line block ×3, first 2 shown]
.LBB0_9:
	s_or_b64 exec, exec, s[2:3]
	v_accvgpr_read_b32 v67, a1
	v_accvgpr_read_b32 v66, a0
	v_lshlrev_b64 v[24:25], 5, v[66:67]
	v_lshl_add_u64 v[186:187], s[8:9], 0, v[24:25]
	global_load_dwordx4 v[108:111], v[186:187], off offset:2416
	global_load_dwordx4 v[112:115], v[186:187], off offset:2400
	s_mov_b64 s[2:3], 0x10e
	v_lshl_add_u64 v[188:189], v[66:67], 0, s[2:3]
	s_mov_b64 s[2:3], 0x168
	v_lshl_add_u64 v[200:201], v[66:67], 0, s[2:3]
	;; [unrolled: 2-line block ×3, first 2 shown]
	s_movk_i32 s2, 0xffba
	s_mov_b32 s3, -1
	v_mov_b32_e32 v27, 0
	s_mov_b32 s13, 0xbfebb67a
	s_waitcnt vmcnt(1) lgkmcnt(12)
	v_mul_f64 v[192:193], v[12:13], v[110:111]
	s_waitcnt vmcnt(0) lgkmcnt(4)
	v_mul_f64 v[24:25], v[18:19], v[114:115]
	v_fma_f64 v[190:191], v[16:17], v[112:113], -v[24:25]
	v_mul_f64 v[16:17], v[16:17], v[114:115]
	v_fmac_f64_e32 v[16:17], v[18:19], v[112:113]
	v_mul_f64 v[18:19], v[14:15], v[110:111]
	v_fma_f64 v[18:19], v[12:13], v[108:109], -v[18:19]
	v_lshl_add_u64 v[12:13], v[66:67], 0, s[2:3]
	s_movk_i32 s2, 0x46
	v_cmp_gt_u16_e64 s[2:3], s2, v66
	v_fmac_f64_e32 v[192:193], v[14:15], v[108:109]
	s_nop 0
	v_cndmask_b32_e64 v13, v13, v185, s[2:3]
	v_cndmask_b32_e64 v12, v12, v184, s[2:3]
	v_lshlrev_b64 v[14:15], 5, v[12:13]
	v_lshl_add_u64 v[14:15], s[8:9], 0, v[14:15]
	global_load_dwordx4 v[116:119], v[14:15], off offset:2416
	global_load_dwordx4 v[120:123], v[14:15], off offset:2400
	global_load_dwordx4 v[124:127], v[186:187], off offset:3056
	global_load_dwordx4 v[128:131], v[186:187], off offset:3040
	s_mov_b32 s2, 0xcccd
	v_mul_u32_u24_sdwa v13, v188, s2 dst_sel:DWORD dst_unused:UNUSED_PAD src0_sel:WORD_0 src1_sel:DWORD
	v_lshrrev_b32_e32 v13, 23, v13
	v_mul_lo_u16_e32 v24, 0xa0, v13
	v_sub_u16_e32 v24, v188, v24
	v_lshlrev_b16_e32 v26, 5, v24
	v_lshl_add_u64 v[28:29], s[8:9], 0, v[26:27]
	v_mul_u32_u24_sdwa v25, v200, s2 dst_sel:DWORD dst_unused:UNUSED_PAD src0_sel:WORD_0 src1_sel:DWORD
	v_lshrrev_b32_e32 v25, 23, v25
	v_mul_lo_u16_e32 v25, 0xa0, v25
	v_sub_u16_e32 v25, v200, v25
	v_lshlrev_b16_e32 v26, 5, v25
	s_waitcnt vmcnt(1)
	v_mul_f64 v[194:195], v[132:133], v[126:127]
	v_mul_f64 v[14:15], v[10:11], v[122:123]
	v_fma_f64 v[14:15], v[8:9], v[120:121], -v[14:15]
	v_mul_f64 v[8:9], v[8:9], v[122:123]
	v_fmac_f64_e32 v[8:9], v[10:11], v[120:121]
	v_mul_f64 v[10:11], v[6:7], v[118:119]
	v_fma_f64 v[10:11], v[4:5], v[116:117], -v[10:11]
	v_mul_f64 v[4:5], v[4:5], v[118:119]
	v_fmac_f64_e32 v[4:5], v[6:7], v[116:117]
	s_waitcnt vmcnt(0)
	v_mul_f64 v[6:7], v[2:3], v[130:131]
	v_fma_f64 v[6:7], v[0:1], v[128:129], -v[6:7]
	v_mul_f64 v[0:1], v[0:1], v[130:131]
	v_fmac_f64_e32 v[0:1], v[2:3], v[128:129]
	v_mul_f64 v[2:3], v[134:135], v[126:127]
	v_fma_f64 v[2:3], v[132:133], v[124:125], -v[2:3]
	v_fmac_f64_e32 v[194:195], v[134:135], v[124:125]
	global_load_dwordx4 v[132:135], v[28:29], off offset:2416
	global_load_dwordx4 v[136:139], v[28:29], off offset:2400
	s_waitcnt vmcnt(1)
	v_mul_f64 v[204:205], v[140:141], v[134:135]
	s_waitcnt vmcnt(0) lgkmcnt(2)
	v_mul_f64 v[28:29], v[146:147], v[138:139]
	v_fma_f64 v[196:197], v[144:145], v[136:137], -v[28:29]
	v_mul_f64 v[28:29], v[142:143], v[134:135]
	v_mul_f64 v[198:199], v[144:145], v[138:139]
	v_fma_f64 v[202:203], v[140:141], v[132:133], -v[28:29]
	v_lshl_add_u64 v[28:29], s[8:9], 0, v[26:27]
	v_fmac_f64_e32 v[198:199], v[146:147], v[136:137]
	v_fmac_f64_e32 v[204:205], v[142:143], v[132:133]
	global_load_dwordx4 v[140:143], v[28:29], off offset:2416
	global_load_dwordx4 v[144:147], v[28:29], off offset:2400
	v_mul_u32_u24_sdwa v26, v224, s2 dst_sel:DWORD dst_unused:UNUSED_PAD src0_sel:WORD_0 src1_sel:DWORD
	v_lshrrev_b32_e32 v26, 23, v26
	v_mul_lo_u16_e32 v26, 0xa0, v26
	v_sub_u16_e32 v53, v224, v26
	v_lshlrev_b16_e32 v26, 5, v53
	v_lshl_add_u64 v[26:27], s[8:9], 0, v[26:27]
	s_mov_b32 s2, 0xe8584caa
	s_mov_b32 s3, 0x3febb67a
	;; [unrolled: 1-line block ×3, first 2 shown]
	s_waitcnt vmcnt(1) lgkmcnt(0)
	v_mul_f64 v[30:31], v[150:151], v[142:143]
	s_waitcnt vmcnt(0)
	v_mul_f64 v[28:29], v[154:155], v[146:147]
	v_fma_f64 v[206:207], v[152:153], v[144:145], -v[28:29]
	v_mul_f64 v[28:29], v[152:153], v[146:147]
	v_mul_f64 v[208:209], v[148:149], v[142:143]
	v_fmac_f64_e32 v[28:29], v[154:155], v[144:145]
	v_fma_f64 v[30:31], v[148:149], v[140:141], -v[30:31]
	v_fmac_f64_e32 v[208:209], v[150:151], v[140:141]
	global_load_dwordx4 v[148:151], v[26:27], off offset:2416
	global_load_dwordx4 v[152:155], v[26:27], off offset:2400
	s_barrier
	s_waitcnt vmcnt(1)
	v_mul_f64 v[64:65], v[160:161], v[150:151]
	s_waitcnt vmcnt(0)
	v_mul_f64 v[26:27], v[158:159], v[154:155]
	v_fma_f64 v[54:55], v[156:157], v[152:153], -v[26:27]
	v_mul_f64 v[26:27], v[162:163], v[150:151]
	v_fma_f64 v[58:59], v[160:161], v[148:149], -v[26:27]
	v_add_f64 v[26:27], v[180:181], v[190:191]
	v_add_f64 v[32:33], v[26:27], v[18:19]
	;; [unrolled: 1-line block ×3, first 2 shown]
	v_fmac_f64_e32 v[180:181], -0.5, v[26:27]
	v_add_f64 v[26:27], v[16:17], -v[192:193]
	v_fma_f64 v[36:37], s[2:3], v[26:27], v[180:181]
	v_fmac_f64_e32 v[180:181], s[12:13], v[26:27]
	v_add_f64 v[26:27], v[182:183], v[16:17]
	v_add_f64 v[16:17], v[16:17], v[192:193]
	v_fmac_f64_e32 v[182:183], -0.5, v[16:17]
	v_add_f64 v[16:17], v[190:191], -v[18:19]
	v_add_f64 v[18:19], v[14:15], v[10:11]
	v_fma_f64 v[38:39], s[12:13], v[16:17], v[182:183]
	v_fmac_f64_e32 v[182:183], s[2:3], v[16:17]
	v_add_f64 v[16:17], v[176:177], v[14:15]
	v_fmac_f64_e32 v[176:177], -0.5, v[18:19]
	v_add_f64 v[18:19], v[8:9], -v[4:5]
	v_fma_f64 v[40:41], s[2:3], v[18:19], v[176:177]
	v_fmac_f64_e32 v[176:177], s[12:13], v[18:19]
	v_add_f64 v[18:19], v[178:179], v[8:9]
	v_add_f64 v[18:19], v[18:19], v[4:5]
	;; [unrolled: 1-line block ×3, first 2 shown]
	v_fmac_f64_e32 v[178:179], -0.5, v[4:5]
	v_add_f64 v[4:5], v[14:15], -v[10:11]
	v_fma_f64 v[42:43], s[12:13], v[4:5], v[178:179]
	v_fmac_f64_e32 v[178:179], s[2:3], v[4:5]
	v_add_f64 v[4:5], v[172:173], v[6:7]
	v_add_f64 v[8:9], v[4:5], v[2:3]
	;; [unrolled: 1-line block ×4, first 2 shown]
	v_fmac_f64_e32 v[172:173], -0.5, v[4:5]
	v_add_f64 v[10:11], v[0:1], -v[194:195]
	v_fma_f64 v[4:5], s[2:3], v[10:11], v[172:173]
	v_fmac_f64_e32 v[172:173], s[12:13], v[10:11]
	v_add_f64 v[10:11], v[174:175], v[0:1]
	v_add_f64 v[0:1], v[0:1], v[194:195]
	v_fmac_f64_e32 v[174:175], -0.5, v[0:1]
	v_add_f64 v[0:1], v[6:7], -v[2:3]
	v_add_f64 v[2:3], v[196:197], v[202:203]
	v_fma_f64 v[6:7], s[12:13], v[0:1], v[174:175]
	v_fmac_f64_e32 v[174:175], s[2:3], v[0:1]
	v_add_f64 v[0:1], v[168:169], v[196:197]
	v_fmac_f64_e32 v[168:169], -0.5, v[2:3]
	v_add_f64 v[2:3], v[198:199], -v[204:205]
	v_add_f64 v[14:15], v[198:199], v[204:205]
	v_fma_f64 v[44:45], s[2:3], v[2:3], v[168:169]
	v_fmac_f64_e32 v[168:169], s[12:13], v[2:3]
	v_add_f64 v[2:3], v[170:171], v[198:199]
	v_fmac_f64_e32 v[170:171], -0.5, v[14:15]
	v_add_f64 v[14:15], v[196:197], -v[202:203]
	v_fma_f64 v[46:47], s[12:13], v[14:15], v[170:171]
	v_fmac_f64_e32 v[170:171], s[2:3], v[14:15]
	v_add_f64 v[14:15], v[164:165], v[206:207]
	v_mul_f64 v[56:57], v[156:157], v[154:155]
	v_add_f64 v[156:157], v[14:15], v[30:31]
	v_add_f64 v[14:15], v[206:207], v[30:31]
	v_fmac_f64_e32 v[164:165], -0.5, v[14:15]
	v_add_f64 v[14:15], v[28:29], -v[208:209]
	v_add_f64 v[34:35], v[26:27], v[192:193]
	v_fma_f64 v[26:27], s[2:3], v[14:15], v[164:165]
	v_fmac_f64_e32 v[164:165], s[12:13], v[14:15]
	v_add_f64 v[14:15], v[166:167], v[28:29]
	v_fmac_f64_e32 v[56:57], v[158:159], v[152:153]
	v_add_f64 v[158:159], v[14:15], v[208:209]
	v_add_f64 v[14:15], v[28:29], v[208:209]
	v_fmac_f64_e32 v[166:167], -0.5, v[14:15]
	v_add_f64 v[14:15], v[206:207], -v[30:31]
	v_fma_f64 v[28:29], s[12:13], v[14:15], v[166:167]
	v_fmac_f64_e32 v[166:167], s[2:3], v[14:15]
	v_add_f64 v[14:15], v[216:217], v[54:55]
	v_fmac_f64_e32 v[64:65], v[162:163], v[148:149]
	v_add_f64 v[2:3], v[2:3], v[204:205]
	v_add_f64 v[204:205], v[14:15], v[58:59]
	;; [unrolled: 1-line block ×3, first 2 shown]
	v_fmac_f64_e32 v[216:217], -0.5, v[14:15]
	v_add_f64 v[14:15], v[56:57], -v[64:65]
	v_fma_f64 v[220:221], s[2:3], v[14:15], v[216:217]
	v_fmac_f64_e32 v[216:217], s[12:13], v[14:15]
	v_add_f64 v[14:15], v[218:219], v[56:57]
	v_add_f64 v[206:207], v[14:15], v[64:65]
	;; [unrolled: 1-line block ×3, first 2 shown]
	v_fmac_f64_e32 v[218:219], -0.5, v[14:15]
	v_add_f64 v[14:15], v[54:55], -v[58:59]
	v_fma_f64 v[222:223], s[12:13], v[14:15], v[218:219]
	v_fmac_f64_e32 v[218:219], s[2:3], v[14:15]
	s_movk_i32 s2, 0x45
	v_cmp_lt_u16_e64 s[2:3], s2, v66
	v_mov_b32_e32 v14, 0x1e0
	s_movk_i32 s12, 0x1e0
	v_cndmask_b32_e64 v14, 0, v14, s[2:3]
	v_add_lshl_u32 v12, v12, v14, 4
	v_add_f64 v[10:11], v[10:11], v[194:195]
	ds_write_b128 v22, v[32:35]
	ds_write_b128 v22, v[36:39] offset:2560
	ds_write_b128 v22, v[180:183] offset:5120
	ds_write_b128 v12, v[16:19]
	ds_write_b128 v12, v[40:43] offset:2560
	ds_write_b128 v12, v[176:179] offset:5120
	;; [unrolled: 1-line block ×5, first 2 shown]
	v_mad_legacy_u16 v4, v13, s12, v24
	v_add_f64 v[0:1], v[0:1], v[202:203]
	v_lshlrev_b32_e32 v4, 4, v4
	ds_write_b128 v4, v[0:3]
	ds_write_b128 v4, v[44:47] offset:2560
	v_lshlrev_b32_e32 v0, 4, v25
	ds_write_b128 v4, v[168:171] offset:5120
	ds_write_b128 v0, v[156:159] offset:15360
	;; [unrolled: 1-line block ×3, first 2 shown]
	v_accvgpr_write_b32 a101, v0
	ds_write_b128 v0, v[164:167] offset:20480
	v_lshlrev_b32_e32 v0, 4, v53
	v_accvgpr_write_b32 a99, v12
	v_accvgpr_write_b32 a100, v4
	;; [unrolled: 1-line block ×3, first 2 shown]
	s_and_saveexec_b64 s[2:3], s[0:1]
	s_cbranch_execz .LBB0_11
; %bb.10:
	v_accvgpr_read_b32 v0, a98
	ds_write_b128 v0, v[204:207] offset:15360
	ds_write_b128 v0, v[220:223] offset:17920
	;; [unrolled: 1-line block ×3, first 2 shown]
.LBB0_11:
	s_or_b64 exec, exec, s[2:3]
	s_waitcnt lgkmcnt(0)
	s_barrier
	ds_read_b128 v[244:247], v22
	ds_read_b128 v[240:243], v22 offset:1440
	ds_read_b128 v[172:175], v22 offset:15360
	;; [unrolled: 1-line block ×14, first 2 shown]
	s_and_saveexec_b64 s[2:3], s[0:1]
	s_cbranch_execz .LBB0_13
; %bb.12:
	ds_read_b128 v[204:207], v22 offset:7200
	ds_read_b128 v[220:223], v22 offset:14880
	;; [unrolled: 1-line block ×3, first 2 shown]
.LBB0_13:
	s_or_b64 exec, exec, s[2:3]
	s_movk_i32 s14, 0x1000
	v_add_co_u32_e64 v26, s[2:3], s14, v186
	s_mov_b64 s[12:13], 0x1d60
	s_nop 0
	v_addc_co_u32_e64 v27, s[2:3], 0, v187, s[2:3]
	v_lshl_add_u64 v[24:25], v[186:187], 0, s[12:13]
	global_load_dwordx4 v[156:159], v[26:27], off offset:3424
	global_load_dwordx4 v[160:163], v[24:25], off offset:16
	v_lshlrev_b32_e32 v248, 5, v184
	v_mov_b32_e32 v249, 0
	s_waitcnt vmcnt(1) lgkmcnt(4)
	v_mul_f64 v[24:25], v[178:179], v[158:159]
	v_fma_f64 v[226:227], v[176:177], v[156:157], -v[24:25]
	s_waitcnt vmcnt(0)
	v_mul_f64 v[24:25], v[174:175], v[162:163]
	v_fma_f64 v[230:231], v[172:173], v[160:161], -v[24:25]
	v_lshl_add_u64 v[24:25], s[8:9], 0, v[248:249]
	v_lshl_add_u64 v[26:27], v[24:25], 0, s[12:13]
	v_add_co_u32_e64 v24, s[2:3], s14, v24
	v_mul_f64 v[228:229], v[176:177], v[158:159]
	v_mul_f64 v[232:233], v[172:173], v[162:163]
	v_addc_co_u32_e64 v25, s[2:3], 0, v25, s[2:3]
	v_fmac_f64_e32 v[228:229], v[178:179], v[156:157]
	v_fmac_f64_e32 v[232:233], v[174:175], v[160:161]
	global_load_dwordx4 v[172:175], v[24:25], off offset:3424
	global_load_dwordx4 v[176:179], v[26:27], off offset:16
	v_accvgpr_read_b32 v27, a1
	v_accvgpr_read_b32 v26, a0
	s_waitcnt vmcnt(1)
	v_mul_f64 v[24:25], v[18:19], v[174:175]
	v_fma_f64 v[234:235], v[16:17], v[172:173], -v[24:25]
	v_mul_f64 v[16:17], v[16:17], v[174:175]
	v_fmac_f64_e32 v[16:17], v[18:19], v[172:173]
	s_waitcnt vmcnt(0)
	v_mul_f64 v[18:19], v[14:15], v[178:179]
	v_fma_f64 v[18:19], v[12:13], v[176:177], -v[18:19]
	v_mul_f64 v[12:13], v[12:13], v[178:179]
	v_fmac_f64_e32 v[12:13], v[14:15], v[176:177]
	v_mov_b32_e32 v14, 0x1680
	v_lshl_add_u32 v248, v26, 5, v14
	v_lshl_add_u64 v[14:15], s[8:9], 0, v[248:249]
	v_lshl_add_u64 v[24:25], v[14:15], 0, s[12:13]
	v_add_co_u32_e64 v14, s[2:3], s14, v14
	s_nop 1
	v_addc_co_u32_e64 v15, s[2:3], 0, v15, s[2:3]
	global_load_dwordx4 v[180:183], v[14:15], off offset:3424
	global_load_dwordx4 v[184:187], v[24:25], off offset:16
	s_waitcnt vmcnt(1)
	v_mul_f64 v[14:15], v[6:7], v[182:183]
	v_fma_f64 v[14:15], v[4:5], v[180:181], -v[14:15]
	v_mul_f64 v[4:5], v[4:5], v[182:183]
	v_fmac_f64_e32 v[4:5], v[6:7], v[180:181]
	s_waitcnt vmcnt(0)
	v_mul_f64 v[6:7], v[10:11], v[186:187]
	v_fma_f64 v[6:7], v[8:9], v[184:185], -v[6:7]
	v_mul_f64 v[8:9], v[8:9], v[186:187]
	v_fmac_f64_e32 v[8:9], v[10:11], v[184:185]
	v_lshlrev_b64 v[10:11], 5, v[188:189]
	v_lshl_add_u64 v[10:11], s[8:9], 0, v[10:11]
	v_lshl_add_u64 v[24:25], v[10:11], 0, s[12:13]
	v_add_co_u32_e64 v10, s[2:3], s14, v10
	s_nop 1
	v_addc_co_u32_e64 v11, s[2:3], 0, v11, s[2:3]
	global_load_dwordx4 v[188:191], v[10:11], off offset:3424
	global_load_dwordx4 v[192:195], v[24:25], off offset:16
	s_waitcnt vmcnt(1) lgkmcnt(2)
	v_mul_f64 v[10:11], v[198:199], v[190:191]
	s_waitcnt vmcnt(0)
	v_mul_f64 v[24:25], v[2:3], v[194:195]
	v_fma_f64 v[252:253], v[0:1], v[192:193], -v[24:25]
	v_mul_f64 v[0:1], v[0:1], v[194:195]
	v_fmac_f64_e32 v[0:1], v[2:3], v[192:193]
	v_lshlrev_b64 v[2:3], 5, v[200:201]
	v_lshl_add_u64 v[2:3], s[8:9], 0, v[2:3]
	v_lshl_add_u64 v[24:25], v[2:3], 0, s[12:13]
	v_add_co_u32_e64 v2, s[2:3], s14, v2
	v_mul_f64 v[250:251], v[196:197], v[190:191]
	s_nop 0
	v_addc_co_u32_e64 v3, s[2:3], 0, v3, s[2:3]
	v_fma_f64 v[10:11], v[196:197], v[188:189], -v[10:11]
	v_fmac_f64_e32 v[250:251], v[198:199], v[188:189]
	global_load_dwordx4 v[196:199], v[2:3], off offset:3424
	global_load_dwordx4 v[200:203], v[24:25], off offset:16
	s_movk_i32 s2, 0xffe2
	s_mov_b32 s3, -1
	s_waitcnt vmcnt(1) lgkmcnt(1)
	v_mul_f64 v[2:3], v[170:171], v[198:199]
	s_waitcnt vmcnt(0) lgkmcnt(0)
	v_mul_f64 v[24:25], v[166:167], v[202:203]
	v_fma_f64 v[28:29], v[164:165], v[200:201], -v[24:25]
	v_lshl_add_u64 v[24:25], v[26:27], 0, s[2:3]
	v_cndmask_b32_e64 v25, v25, v225, s[0:1]
	v_cndmask_b32_e64 v24, v24, v224, s[0:1]
	v_lshlrev_b64 v[24:25], 5, v[24:25]
	v_lshl_add_u64 v[24:25], s[8:9], 0, v[24:25]
	v_lshl_add_u64 v[26:27], v[24:25], 0, s[12:13]
	v_add_co_u32_e64 v24, s[2:3], s14, v24
	s_mov_b32 s9, 0xbfebb67a
	s_nop 0
	v_addc_co_u32_e64 v25, s[2:3], 0, v25, s[2:3]
	global_load_dwordx4 v[32:35], v[24:25], off offset:3424
	global_load_dwordx4 v[36:39], v[26:27], off offset:16
	v_add_f64 v[26:27], v[226:227], v[230:231]
	s_mov_b32 s2, 0xe8584caa
	s_mov_b32 s3, 0x3febb67a
	;; [unrolled: 1-line block ×3, first 2 shown]
	v_fma_f64 v[2:3], v[168:169], v[196:197], -v[2:3]
	v_mul_f64 v[254:255], v[168:169], v[198:199]
	v_mul_f64 v[30:31], v[164:165], v[202:203]
	v_fmac_f64_e32 v[254:255], v[170:171], v[196:197]
	v_fmac_f64_e32 v[30:31], v[166:167], v[200:201]
	s_waitcnt vmcnt(1)
	v_mul_f64 v[24:25], v[222:223], v[34:35]
	v_fma_f64 v[44:45], v[220:221], v[32:33], -v[24:25]
	v_accvgpr_write_b32 a105, v35
	s_waitcnt vmcnt(0)
	v_mul_f64 v[24:25], v[218:219], v[38:39]
	v_mul_f64 v[46:47], v[220:221], v[34:35]
	v_accvgpr_write_b32 a104, v34
	v_accvgpr_write_b32 a103, v33
	;; [unrolled: 1-line block ×3, first 2 shown]
	v_fma_f64 v[54:55], v[216:217], v[36:37], -v[24:25]
	v_mul_f64 v[56:57], v[216:217], v[38:39]
	v_accvgpr_write_b32 a109, v39
	v_add_f64 v[24:25], v[244:245], v[226:227]
	v_fmac_f64_e32 v[244:245], -0.5, v[26:27]
	v_add_f64 v[26:27], v[228:229], -v[232:233]
	v_add_f64 v[34:35], v[228:229], v[232:233]
	v_fmac_f64_e32 v[46:47], v[222:223], v[32:33]
	v_accvgpr_write_b32 a108, v38
	v_accvgpr_write_b32 a107, v37
	;; [unrolled: 1-line block ×3, first 2 shown]
	v_fmac_f64_e32 v[56:57], v[218:219], v[36:37]
	v_fma_f64 v[32:33], s[2:3], v[26:27], v[244:245]
	v_fmac_f64_e32 v[244:245], s[8:9], v[26:27]
	v_add_f64 v[26:27], v[246:247], v[228:229]
	v_fmac_f64_e32 v[246:247], -0.5, v[34:35]
	v_add_f64 v[36:37], v[226:227], -v[230:231]
	v_add_f64 v[38:39], v[234:235], v[18:19]
	v_fma_f64 v[34:35], s[8:9], v[36:37], v[246:247]
	v_fmac_f64_e32 v[246:247], s[2:3], v[36:37]
	v_add_f64 v[36:37], v[240:241], v[234:235]
	v_fmac_f64_e32 v[240:241], -0.5, v[38:39]
	v_add_f64 v[38:39], v[16:17], -v[12:13]
	v_fma_f64 v[40:41], s[2:3], v[38:39], v[240:241]
	v_fmac_f64_e32 v[240:241], s[8:9], v[38:39]
	v_add_f64 v[38:39], v[242:243], v[16:17]
	v_add_f64 v[38:39], v[38:39], v[12:13]
	v_add_f64 v[12:13], v[16:17], v[12:13]
	v_fmac_f64_e32 v[242:243], -0.5, v[12:13]
	v_add_f64 v[12:13], v[234:235], -v[18:19]
	v_fma_f64 v[42:43], s[8:9], v[12:13], v[242:243]
	v_fmac_f64_e32 v[242:243], s[2:3], v[12:13]
	v_add_f64 v[12:13], v[236:237], v[14:15]
	v_add_f64 v[16:17], v[12:13], v[6:7]
	;; [unrolled: 1-line block ×4, first 2 shown]
	v_fmac_f64_e32 v[236:237], -0.5, v[12:13]
	v_add_f64 v[18:19], v[4:5], -v[8:9]
	v_fma_f64 v[12:13], s[2:3], v[18:19], v[236:237]
	v_fmac_f64_e32 v[236:237], s[8:9], v[18:19]
	v_add_f64 v[18:19], v[238:239], v[4:5]
	v_add_f64 v[4:5], v[4:5], v[8:9]
	v_fmac_f64_e32 v[238:239], -0.5, v[4:5]
	v_add_f64 v[4:5], v[14:15], -v[6:7]
	v_add_f64 v[6:7], v[10:11], v[252:253]
	v_fma_f64 v[14:15], s[8:9], v[4:5], v[238:239]
	v_fmac_f64_e32 v[238:239], s[2:3], v[4:5]
	v_add_f64 v[4:5], v[208:209], v[10:11]
	v_fmac_f64_e32 v[208:209], -0.5, v[6:7]
	v_add_f64 v[6:7], v[250:251], -v[0:1]
	v_fma_f64 v[216:217], s[2:3], v[6:7], v[208:209]
	v_fmac_f64_e32 v[208:209], s[8:9], v[6:7]
	v_add_f64 v[6:7], v[210:211], v[250:251]
	v_add_f64 v[6:7], v[6:7], v[0:1]
	v_add_f64 v[0:1], v[250:251], v[0:1]
	v_fmac_f64_e32 v[210:211], -0.5, v[0:1]
	v_add_f64 v[0:1], v[10:11], -v[252:253]
	v_fma_f64 v[218:219], s[8:9], v[0:1], v[210:211]
	v_fmac_f64_e32 v[210:211], s[2:3], v[0:1]
	v_add_f64 v[0:1], v[212:213], v[2:3]
	v_add_f64 v[220:221], v[0:1], v[28:29]
	;; [unrolled: 7-line block ×4, first 2 shown]
	v_add_f64 v[0:1], v[44:45], v[54:55]
	v_fmac_f64_e32 v[204:205], -0.5, v[0:1]
	v_add_f64 v[0:1], v[46:47], -v[56:57]
	v_add_f64 v[26:27], v[26:27], v[232:233]
	v_fma_f64 v[232:233], s[2:3], v[0:1], v[204:205]
	v_fmac_f64_e32 v[204:205], s[8:9], v[0:1]
	v_add_f64 v[0:1], v[206:207], v[46:47]
	v_add_f64 v[24:25], v[24:25], v[230:231]
	;; [unrolled: 1-line block ×4, first 2 shown]
	v_fmac_f64_e32 v[206:207], -0.5, v[0:1]
	v_add_f64 v[0:1], v[44:45], -v[54:55]
	v_fma_f64 v[234:235], s[8:9], v[0:1], v[206:207]
	v_fmac_f64_e32 v[206:207], s[2:3], v[0:1]
	v_add_f64 v[18:19], v[18:19], v[8:9]
	v_add_f64 v[4:5], v[4:5], v[252:253]
	ds_write_b128 v22, v[24:27]
	ds_write_b128 v22, v[32:35] offset:7680
	ds_write_b128 v22, v[244:247] offset:15360
	;; [unrolled: 1-line block ×14, first 2 shown]
	s_and_saveexec_b64 s[2:3], s[0:1]
	s_cbranch_execz .LBB0_15
; %bb.14:
	ds_write_b128 v22, v[228:231] offset:7200
	ds_write_b128 v22, v[232:235] offset:14880
	;; [unrolled: 1-line block ×3, first 2 shown]
.LBB0_15:
	s_or_b64 exec, exec, s[2:3]
	s_add_u32 s8, s16, 0x5a00
	v_accvgpr_read_b32 v0, a0
	s_addc_u32 s9, s17, 0
	v_lshlrev_b32_e32 v248, 4, v0
	s_waitcnt lgkmcnt(0)
	s_barrier
	global_load_dwordx4 v[6:9], v248, s[8:9]
	ds_read_b128 v[2:5], v22
	v_lshl_add_u64 v[0:1], s[8:9], 0, v[248:249]
	v_add_co_u32_e64 v14, s[2:3], s14, v0
	s_waitcnt vmcnt(0) lgkmcnt(0)
	v_mul_f64 v[10:11], v[4:5], v[8:9]
	v_mul_f64 v[12:13], v[2:3], v[8:9]
	v_fma_f64 v[10:11], v[2:3], v[6:7], -v[10:11]
	v_fmac_f64_e32 v[12:13], v[4:5], v[6:7]
	global_load_dwordx4 v[6:9], v248, s[8:9] offset:2304
	ds_read_b128 v[2:5], v22 offset:2304
	ds_write_b128 v22, v[10:13]
	v_addc_co_u32_e64 v15, s[2:3], 0, v1, s[2:3]
	s_movk_i32 s2, 0x2000
	s_waitcnt vmcnt(0) lgkmcnt(1)
	v_mul_f64 v[10:11], v[4:5], v[8:9]
	v_mul_f64 v[12:13], v[2:3], v[8:9]
	v_fma_f64 v[10:11], v[2:3], v[6:7], -v[10:11]
	v_fmac_f64_e32 v[12:13], v[4:5], v[6:7]
	global_load_dwordx4 v[6:9], v[14:15], off offset:512
	ds_read_b128 v[2:5], v22 offset:4608
	ds_write_b128 v22, v[10:13] offset:2304
	s_waitcnt vmcnt(0) lgkmcnt(1)
	v_mul_f64 v[10:11], v[4:5], v[8:9]
	v_mul_f64 v[12:13], v[2:3], v[8:9]
	v_fma_f64 v[10:11], v[2:3], v[6:7], -v[10:11]
	v_fmac_f64_e32 v[12:13], v[4:5], v[6:7]
	global_load_dwordx4 v[6:9], v[14:15], off offset:2816
	ds_read_b128 v[2:5], v22 offset:6912
	ds_write_b128 v22, v[10:13] offset:4608
	s_waitcnt vmcnt(0) lgkmcnt(1)
	v_mul_f64 v[12:13], v[2:3], v[8:9]
	v_mul_f64 v[10:11], v[4:5], v[8:9]
	v_fmac_f64_e32 v[12:13], v[4:5], v[6:7]
	v_add_co_u32_e64 v4, s[2:3], s2, v0
	v_fma_f64 v[10:11], v[2:3], v[6:7], -v[10:11]
	s_nop 0
	v_addc_co_u32_e64 v5, s[2:3], 0, v1, s[2:3]
	ds_write_b128 v22, v[10:13] offset:6912
	global_load_dwordx4 v[10:13], v[4:5], off offset:1024
	ds_read_b128 v[6:9], v22 offset:9216
	s_movk_i32 s2, 0x3000
	s_waitcnt vmcnt(0) lgkmcnt(0)
	v_mul_f64 v[2:3], v[8:9], v[12:13]
	v_mul_f64 v[16:17], v[6:7], v[12:13]
	v_fma_f64 v[14:15], v[6:7], v[10:11], -v[2:3]
	v_fmac_f64_e32 v[16:17], v[8:9], v[10:11]
	global_load_dwordx4 v[10:13], v[4:5], off offset:3328
	ds_read_b128 v[6:9], v22 offset:11520
	ds_write_b128 v22, v[14:17] offset:9216
	s_waitcnt vmcnt(0) lgkmcnt(1)
	v_mul_f64 v[2:3], v[8:9], v[12:13]
	v_fma_f64 v[14:15], v[6:7], v[10:11], -v[2:3]
	v_add_co_u32_e64 v2, s[2:3], s2, v0
	v_mul_f64 v[16:17], v[6:7], v[12:13]
	s_nop 0
	v_addc_co_u32_e64 v3, s[2:3], 0, v1, s[2:3]
	v_fmac_f64_e32 v[16:17], v[8:9], v[10:11]
	global_load_dwordx4 v[10:13], v[2:3], off offset:1536
	ds_read_b128 v[6:9], v22 offset:13824
	ds_write_b128 v22, v[14:17] offset:11520
	s_movk_i32 s2, 0x5000
	s_waitcnt vmcnt(0) lgkmcnt(1)
	v_mul_f64 v[14:15], v[8:9], v[12:13]
	v_mul_f64 v[16:17], v[6:7], v[12:13]
	v_fma_f64 v[14:15], v[6:7], v[10:11], -v[14:15]
	v_fmac_f64_e32 v[16:17], v[8:9], v[10:11]
	global_load_dwordx4 v[10:13], v[2:3], off offset:3840
	ds_read_b128 v[6:9], v22 offset:16128
	ds_write_b128 v22, v[14:17] offset:13824
	s_waitcnt vmcnt(0) lgkmcnt(1)
	v_mul_f64 v[14:15], v[8:9], v[12:13]
	v_mul_f64 v[16:17], v[6:7], v[12:13]
	v_fma_f64 v[14:15], v[6:7], v[10:11], -v[14:15]
	v_fmac_f64_e32 v[16:17], v[8:9], v[10:11]
	v_accvgpr_read_b32 v10, a45
	global_load_dwordx4 v[10:13], v10, s[8:9]
	ds_read_b128 v[6:9], v22 offset:18432
	ds_write_b128 v22, v[14:17] offset:16128
	s_waitcnt vmcnt(0) lgkmcnt(1)
	v_mul_f64 v[14:15], v[8:9], v[12:13]
	v_fma_f64 v[14:15], v[6:7], v[10:11], -v[14:15]
	v_mul_f64 v[16:17], v[6:7], v[12:13]
	v_add_co_u32_e64 v6, s[2:3], s2, v0
	v_fmac_f64_e32 v[16:17], v[8:9], v[10:11]
	s_nop 0
	v_addc_co_u32_e64 v7, s[2:3], 0, v1, s[2:3]
	ds_write_b128 v22, v[14:17] offset:18432
	global_load_dwordx4 v[12:15], v[6:7], off offset:256
	ds_read_b128 v[8:11], v22 offset:20736
	s_waitcnt vmcnt(0) lgkmcnt(0)
	v_mul_f64 v[16:17], v[10:11], v[14:15]
	v_mul_f64 v[18:19], v[8:9], v[14:15]
	v_fma_f64 v[16:17], v[8:9], v[12:13], -v[16:17]
	v_fmac_f64_e32 v[18:19], v[10:11], v[12:13]
	ds_write_b128 v22, v[16:19] offset:20736
	s_and_saveexec_b64 s[8:9], vcc
	s_cbranch_execz .LBB0_17
; %bb.16:
	global_load_dwordx4 v[12:15], v[0:1], off offset:1440
	ds_read_b128 v[8:11], v22 offset:1440
	s_movk_i32 s2, 0x1000
	s_waitcnt vmcnt(0) lgkmcnt(0)
	v_mul_f64 v[16:17], v[10:11], v[14:15]
	v_mul_f64 v[18:19], v[8:9], v[14:15]
	v_fma_f64 v[16:17], v[8:9], v[12:13], -v[16:17]
	v_fmac_f64_e32 v[18:19], v[10:11], v[12:13]
	global_load_dwordx4 v[12:15], v[0:1], off offset:3744
	ds_read_b128 v[8:11], v22 offset:3744
	ds_write_b128 v22, v[16:19] offset:1440
	s_waitcnt vmcnt(0) lgkmcnt(1)
	v_mul_f64 v[16:17], v[10:11], v[14:15]
	v_mul_f64 v[18:19], v[8:9], v[14:15]
	v_fma_f64 v[16:17], v[8:9], v[12:13], -v[16:17]
	v_fmac_f64_e32 v[18:19], v[10:11], v[12:13]
	v_add_co_u32_e64 v12, s[2:3], s2, v0
	ds_read_b128 v[8:11], v22 offset:6048
	s_nop 0
	v_addc_co_u32_e64 v13, s[2:3], 0, v1, s[2:3]
	global_load_dwordx4 v[12:15], v[12:13], off offset:1952
	ds_write_b128 v22, v[16:19] offset:3744
	s_movk_i32 s2, 0x4000
	s_waitcnt vmcnt(0) lgkmcnt(1)
	v_mul_f64 v[16:17], v[10:11], v[14:15]
	v_mul_f64 v[18:19], v[8:9], v[14:15]
	v_fma_f64 v[16:17], v[8:9], v[12:13], -v[16:17]
	v_fmac_f64_e32 v[18:19], v[10:11], v[12:13]
	global_load_dwordx4 v[12:15], v[4:5], off offset:160
	ds_read_b128 v[8:11], v22 offset:8352
	ds_write_b128 v22, v[16:19] offset:6048
	s_waitcnt vmcnt(0) lgkmcnt(1)
	v_mul_f64 v[16:17], v[10:11], v[14:15]
	v_mul_f64 v[18:19], v[8:9], v[14:15]
	v_fma_f64 v[16:17], v[8:9], v[12:13], -v[16:17]
	v_fmac_f64_e32 v[18:19], v[10:11], v[12:13]
	global_load_dwordx4 v[12:15], v[4:5], off offset:2464
	ds_read_b128 v[8:11], v22 offset:10656
	ds_write_b128 v22, v[16:19] offset:8352
	;; [unrolled: 8-line block ×3, first 2 shown]
	s_waitcnt vmcnt(0) lgkmcnt(1)
	v_mul_f64 v[4:5], v[10:11], v[14:15]
	v_fma_f64 v[16:17], v[8:9], v[12:13], -v[4:5]
	global_load_dwordx4 v[2:5], v[2:3], off offset:2976
	v_mul_f64 v[18:19], v[8:9], v[14:15]
	v_fmac_f64_e32 v[18:19], v[10:11], v[12:13]
	ds_read_b128 v[8:11], v22 offset:15264
	ds_write_b128 v22, v[16:19] offset:12960
	s_waitcnt vmcnt(0) lgkmcnt(1)
	v_mul_f64 v[12:13], v[10:11], v[4:5]
	v_mul_f64 v[14:15], v[8:9], v[4:5]
	v_fma_f64 v[12:13], v[8:9], v[2:3], -v[12:13]
	v_fmac_f64_e32 v[14:15], v[10:11], v[2:3]
	ds_write_b128 v22, v[12:15] offset:15264
	v_add_co_u32_e64 v12, s[2:3], s2, v0
	ds_read_b128 v[2:5], v22 offset:17568
	s_nop 0
	v_addc_co_u32_e64 v13, s[2:3], 0, v1, s[2:3]
	global_load_dwordx4 v[8:11], v[12:13], off offset:1184
	s_waitcnt vmcnt(0) lgkmcnt(0)
	v_mul_f64 v[0:1], v[4:5], v[10:11]
	v_fma_f64 v[0:1], v[2:3], v[8:9], -v[0:1]
	v_mul_f64 v[2:3], v[2:3], v[10:11]
	v_fmac_f64_e32 v[2:3], v[4:5], v[8:9]
	global_load_dwordx4 v[8:11], v[12:13], off offset:3488
	ds_write_b128 v22, v[0:3] offset:17568
	ds_read_b128 v[0:3], v22 offset:19872
	s_waitcnt vmcnt(0) lgkmcnt(0)
	v_mul_f64 v[4:5], v[2:3], v[10:11]
	v_fma_f64 v[12:13], v[0:1], v[8:9], -v[4:5]
	global_load_dwordx4 v[4:7], v[6:7], off offset:1696
	v_mul_f64 v[14:15], v[0:1], v[10:11]
	v_fmac_f64_e32 v[14:15], v[2:3], v[8:9]
	ds_read_b128 v[0:3], v22 offset:22176
	ds_write_b128 v22, v[12:15] offset:19872
	s_waitcnt vmcnt(0) lgkmcnt(1)
	v_mul_f64 v[8:9], v[2:3], v[6:7]
	v_mul_f64 v[10:11], v[0:1], v[6:7]
	v_fma_f64 v[8:9], v[0:1], v[4:5], -v[8:9]
	v_fmac_f64_e32 v[10:11], v[2:3], v[4:5]
	ds_write_b128 v22, v[8:11] offset:22176
.LBB0_17:
	s_or_b64 exec, exec, s[8:9]
	s_waitcnt lgkmcnt(0)
	s_barrier
	ds_read_b128 v[236:239], v22
	ds_read_b128 v[240:243], v22 offset:2304
	ds_read_b128 v[4:7], v22 offset:4608
	;; [unrolled: 1-line block ×9, first 2 shown]
	s_and_saveexec_b64 s[2:3], vcc
	s_cbranch_execz .LBB0_19
; %bb.18:
	ds_read_b128 v[216:219], v22 offset:1440
	ds_read_b128 v[208:211], v22 offset:3744
	;; [unrolled: 1-line block ×10, first 2 shown]
.LBB0_19:
	s_or_b64 exec, exec, s[2:3]
	s_waitcnt lgkmcnt(3)
	v_add_f64 v[26:27], v[8:9], v[12:13]
	s_mov_b32 s14, 0x134454ff
	v_fma_f64 v[26:27], -0.5, v[26:27], v[236:237]
	s_waitcnt lgkmcnt(1)
	v_add_f64 v[28:29], v[6:7], -v[18:19]
	s_mov_b32 s15, 0xbfee6f0e
	s_mov_b32 s16, 0x4755a5e
	;; [unrolled: 1-line block ×4, first 2 shown]
	v_fma_f64 v[30:31], s[14:15], v[28:29], v[26:27]
	v_add_f64 v[32:33], v[10:11], -v[14:15]
	s_mov_b32 s17, 0xbfe2cf23
	v_add_f64 v[34:35], v[4:5], -v[8:9]
	v_add_f64 v[36:37], v[16:17], -v[12:13]
	s_mov_b32 s12, 0x372fe950
	v_fmac_f64_e32 v[26:27], s[2:3], v[28:29]
	s_mov_b32 s9, 0x3fe2cf23
	s_mov_b32 s8, s16
	v_fmac_f64_e32 v[30:31], s[16:17], v[32:33]
	v_add_f64 v[34:35], v[34:35], v[36:37]
	s_mov_b32 s13, 0x3fd3c6ef
	v_fmac_f64_e32 v[26:27], s[8:9], v[32:33]
	v_fmac_f64_e32 v[30:31], s[12:13], v[34:35]
	;; [unrolled: 1-line block ×3, first 2 shown]
	v_add_f64 v[34:35], v[4:5], v[16:17]
	v_add_f64 v[24:25], v[236:237], v[4:5]
	v_fmac_f64_e32 v[236:237], -0.5, v[34:35]
	v_add_f64 v[24:25], v[24:25], v[8:9]
	v_fma_f64 v[34:35], s[2:3], v[32:33], v[236:237]
	v_add_f64 v[36:37], v[8:9], -v[4:5]
	v_add_f64 v[38:39], v[12:13], -v[16:17]
	v_fmac_f64_e32 v[236:237], s[14:15], v[32:33]
	v_add_f64 v[32:33], v[10:11], v[14:15]
	v_add_f64 v[24:25], v[24:25], v[12:13]
	v_fmac_f64_e32 v[34:35], s[16:17], v[28:29]
	v_add_f64 v[36:37], v[36:37], v[38:39]
	v_fmac_f64_e32 v[236:237], s[8:9], v[28:29]
	v_fma_f64 v[32:33], -0.5, v[32:33], v[238:239]
	v_add_f64 v[4:5], v[4:5], -v[16:17]
	v_add_f64 v[24:25], v[24:25], v[16:17]
	v_fmac_f64_e32 v[34:35], s[12:13], v[36:37]
	v_fmac_f64_e32 v[236:237], s[12:13], v[36:37]
	v_fma_f64 v[16:17], s[2:3], v[4:5], v[32:33]
	v_add_f64 v[8:9], v[8:9], -v[12:13]
	v_add_f64 v[12:13], v[6:7], -v[10:11]
	;; [unrolled: 1-line block ×3, first 2 shown]
	v_fmac_f64_e32 v[32:33], s[14:15], v[4:5]
	v_fmac_f64_e32 v[16:17], s[8:9], v[8:9]
	v_add_f64 v[12:13], v[12:13], v[36:37]
	v_fmac_f64_e32 v[32:33], s[16:17], v[8:9]
	v_fmac_f64_e32 v[16:17], s[12:13], v[12:13]
	;; [unrolled: 1-line block ×3, first 2 shown]
	v_add_f64 v[12:13], v[6:7], v[18:19]
	v_add_f64 v[28:29], v[238:239], v[6:7]
	v_fmac_f64_e32 v[238:239], -0.5, v[12:13]
	v_add_f64 v[28:29], v[28:29], v[10:11]
	v_fma_f64 v[12:13], s[14:15], v[8:9], v[238:239]
	v_add_f64 v[6:7], v[10:11], -v[6:7]
	v_add_f64 v[10:11], v[14:15], -v[18:19]
	v_fmac_f64_e32 v[238:239], s[2:3], v[8:9]
	v_fmac_f64_e32 v[12:13], s[8:9], v[4:5]
	v_add_f64 v[6:7], v[6:7], v[10:11]
	v_fmac_f64_e32 v[238:239], s[16:17], v[4:5]
	v_fmac_f64_e32 v[12:13], s[12:13], v[6:7]
	;; [unrolled: 1-line block ×3, first 2 shown]
	v_add_f64 v[6:7], v[248:249], v[252:253]
	v_add_f64 v[28:29], v[28:29], v[14:15]
	v_fma_f64 v[6:7], -0.5, v[6:7], v[240:241]
	s_waitcnt lgkmcnt(0)
	v_add_f64 v[8:9], v[246:247], -v[2:3]
	v_add_f64 v[28:29], v[28:29], v[18:19]
	v_fma_f64 v[10:11], s[14:15], v[8:9], v[6:7]
	v_add_f64 v[14:15], v[250:251], -v[254:255]
	v_add_f64 v[18:19], v[244:245], -v[248:249]
	v_add_f64 v[36:37], v[0:1], -v[252:253]
	v_fmac_f64_e32 v[6:7], s[2:3], v[8:9]
	v_fmac_f64_e32 v[10:11], s[16:17], v[14:15]
	v_add_f64 v[18:19], v[18:19], v[36:37]
	v_fmac_f64_e32 v[6:7], s[8:9], v[14:15]
	v_add_f64 v[4:5], v[240:241], v[244:245]
	v_fmac_f64_e32 v[10:11], s[12:13], v[18:19]
	v_fmac_f64_e32 v[6:7], s[12:13], v[18:19]
	v_add_f64 v[18:19], v[244:245], v[0:1]
	v_add_f64 v[4:5], v[4:5], v[248:249]
	v_fmac_f64_e32 v[240:241], -0.5, v[18:19]
	v_add_f64 v[4:5], v[4:5], v[252:253]
	v_fma_f64 v[18:19], s[2:3], v[14:15], v[240:241]
	v_add_f64 v[36:37], v[248:249], -v[244:245]
	v_add_f64 v[38:39], v[252:253], -v[0:1]
	v_fmac_f64_e32 v[240:241], s[14:15], v[14:15]
	v_add_f64 v[14:15], v[250:251], v[254:255]
	v_add_f64 v[4:5], v[4:5], v[0:1]
	v_fmac_f64_e32 v[18:19], s[16:17], v[8:9]
	v_add_f64 v[36:37], v[36:37], v[38:39]
	v_fmac_f64_e32 v[240:241], s[8:9], v[8:9]
	v_fma_f64 v[14:15], -0.5, v[14:15], v[242:243]
	v_add_f64 v[0:1], v[244:245], -v[0:1]
	v_fmac_f64_e32 v[18:19], s[12:13], v[36:37]
	v_fmac_f64_e32 v[240:241], s[12:13], v[36:37]
	v_fma_f64 v[36:37], s[2:3], v[0:1], v[14:15]
	v_add_f64 v[38:39], v[248:249], -v[252:253]
	v_add_f64 v[40:41], v[246:247], -v[250:251]
	;; [unrolled: 1-line block ×3, first 2 shown]
	v_fmac_f64_e32 v[14:15], s[14:15], v[0:1]
	v_add_f64 v[8:9], v[242:243], v[246:247]
	v_fmac_f64_e32 v[36:37], s[8:9], v[38:39]
	v_add_f64 v[40:41], v[40:41], v[42:43]
	;; [unrolled: 2-line block ×3, first 2 shown]
	v_fmac_f64_e32 v[36:37], s[12:13], v[40:41]
	v_fmac_f64_e32 v[14:15], s[12:13], v[40:41]
	v_add_f64 v[40:41], v[246:247], v[2:3]
	v_add_f64 v[8:9], v[8:9], v[254:255]
	v_fmac_f64_e32 v[242:243], -0.5, v[40:41]
	v_add_f64 v[8:9], v[8:9], v[2:3]
	v_fma_f64 v[40:41], s[14:15], v[38:39], v[242:243]
	v_add_f64 v[42:43], v[250:251], -v[246:247]
	v_add_f64 v[2:3], v[254:255], -v[2:3]
	v_fmac_f64_e32 v[40:41], s[8:9], v[0:1]
	v_add_f64 v[2:3], v[42:43], v[2:3]
	v_fmac_f64_e32 v[242:243], s[2:3], v[38:39]
	v_fmac_f64_e32 v[40:41], s[12:13], v[2:3]
	;; [unrolled: 1-line block ×3, first 2 shown]
	s_mov_b32 s22, 0x9b97f4a8
	v_fmac_f64_e32 v[242:243], s[12:13], v[2:3]
	v_mul_f64 v[0:1], v[36:37], s[16:17]
	s_mov_b32 s23, 0x3fe9e377
	v_mul_f64 v[2:3], v[40:41], s[14:15]
	v_fmac_f64_e32 v[0:1], s[22:23], v[10:11]
	v_fmac_f64_e32 v[2:3], s[12:13], v[18:19]
	v_mul_f64 v[10:11], v[10:11], s[8:9]
	v_add_f64 v[54:55], v[24:25], v[4:5]
	v_add_f64 v[68:69], v[34:35], v[2:3]
	s_mov_b32 s21, 0xbfe9e377
	s_mov_b32 s20, s22
	v_fmac_f64_e32 v[10:11], s[22:23], v[36:37]
	v_mul_f64 v[36:37], v[40:41], s[12:13]
	v_add_f64 v[80:81], v[24:25], -v[4:5]
	v_add_f64 v[88:89], v[34:35], -v[2:3]
	;; [unrolled: 1-line block ×4, first 2 shown]
	v_mul_f64 v[42:43], v[14:15], s[16:17]
	v_add_f64 v[56:57], v[28:29], v[8:9]
	v_fmac_f64_e32 v[36:37], s[2:3], v[18:19]
	v_mul_f64 v[14:15], v[14:15], s[20:21]
	v_add_f64 v[82:83], v[28:29], -v[8:9]
	v_add_f64 v[248:249], v[4:5], v[2:3]
	v_add_f64 v[4:5], v[212:213], -v[220:221]
	v_add_f64 v[8:9], v[232:233], -v[48:49]
	v_mul_f64 v[38:39], v[242:243], s[14:15]
	s_mov_b32 s19, 0xbfd3c6ef
	s_mov_b32 s18, s12
	v_add_f64 v[70:71], v[12:13], v[36:37]
	v_fmac_f64_e32 v[14:15], s[8:9], v[6:7]
	v_add_f64 v[90:91], v[12:13], -v[36:37]
	v_add_f64 v[250:251], v[8:9], v[4:5]
	v_add_f64 v[8:9], v[222:223], -v[214:215]
	v_add_f64 v[12:13], v[50:51], -v[234:235]
	v_fmac_f64_e32 v[38:39], s[18:19], v[240:241]
	v_add_f64 v[78:79], v[32:33], v[14:15]
	v_add_f64 v[98:99], v[32:33], -v[14:15]
	v_add_f64 v[36:37], v[12:13], v[8:9]
	v_add_f64 v[12:13], v[214:215], -v[222:223]
	v_add_f64 v[14:15], v[234:235], -v[50:51]
	v_add_f64 v[72:73], v[236:237], v[38:39]
	v_add_f64 v[92:93], v[236:237], -v[38:39]
	v_add_f64 v[38:39], v[14:15], v[12:13]
	v_add_f64 v[12:13], v[228:229], v[204:205]
	v_fma_f64 v[34:35], -0.5, v[12:13], v[208:209]
	v_add_f64 v[12:13], v[224:225], -v[228:229]
	v_add_f64 v[14:15], v[60:61], -v[204:205]
	v_add_f64 v[170:171], v[14:15], v[12:13]
	v_add_f64 v[12:13], v[60:61], v[224:225]
	v_fma_f64 v[254:255], -0.5, v[12:13], v[208:209]
	v_add_f64 v[12:13], v[228:229], -v[224:225]
	;; [unrolled: 5-line block ×3, first 2 shown]
	v_add_f64 v[14:15], v[62:63], -v[206:207]
	v_fmac_f64_e32 v[42:43], s[20:21], v[6:7]
	v_mul_f64 v[18:19], v[242:243], s[18:19]
	v_add_f64 v[44:45], v[14:15], v[12:13]
	v_add_f64 v[12:13], v[62:63], v[226:227]
	;; [unrolled: 1-line block ×3, first 2 shown]
	v_fmac_f64_e32 v[18:19], s[2:3], v[240:241]
	v_add_f64 v[96:97], v[26:27], -v[42:43]
	v_add_f64 v[40:41], v[224:225], -v[60:61]
	;; [unrolled: 1-line block ×3, first 2 shown]
	v_fma_f64 v[166:167], -0.5, v[12:13], v[210:211]
	v_add_f64 v[64:65], v[30:31], v[0:1]
	v_add_f64 v[66:67], v[16:17], v[10:11]
	;; [unrolled: 1-line block ×3, first 2 shown]
	v_add_f64 v[84:85], v[30:31], -v[0:1]
	v_add_f64 v[86:87], v[16:17], -v[10:11]
	v_add_f64 v[94:95], v[238:239], -v[18:19]
	v_add_f64 v[0:1], v[232:233], v[212:213]
	v_add_f64 v[2:3], v[48:49], v[220:221]
	;; [unrolled: 1-line block ×4, first 2 shown]
	v_add_f64 v[26:27], v[226:227], -v[62:63]
	v_add_f64 v[164:165], v[230:231], -v[206:207]
	v_fma_f64 v[16:17], s[2:3], v[40:41], v[168:169]
	v_fma_f64 v[238:239], s[14:15], v[42:43], v[166:167]
	v_add_f64 v[12:13], v[230:231], -v[226:227]
	v_add_f64 v[14:15], v[206:207], -v[62:63]
	v_fma_f64 v[6:7], -0.5, v[0:1], v[216:217]
	v_add_f64 v[28:29], v[222:223], -v[50:51]
	v_add_f64 v[246:247], v[214:215], -v[234:235]
	v_fma_f64 v[10:11], -0.5, v[2:3], v[216:217]
	v_fma_f64 v[30:31], -0.5, v[4:5], v[218:219]
	v_add_f64 v[252:253], v[220:221], -v[48:49]
	v_add_f64 v[32:33], v[212:213], -v[232:233]
	v_fma_f64 v[18:19], -0.5, v[8:9], v[218:219]
	v_fma_f64 v[58:59], s[14:15], v[26:27], v[34:35]
	v_fma_f64 v[236:237], s[2:3], v[164:165], v[254:255]
	v_fmac_f64_e32 v[16:17], s[8:9], v[42:43]
	v_fmac_f64_e32 v[238:239], s[8:9], v[40:41]
	v_add_f64 v[46:47], v[14:15], v[12:13]
	v_fma_f64 v[0:1], s[14:15], v[28:29], v[6:7]
	v_fma_f64 v[2:3], s[2:3], v[246:247], v[10:11]
	;; [unrolled: 1-line block ×4, first 2 shown]
	v_fmac_f64_e32 v[58:59], s[16:17], v[164:165]
	v_fmac_f64_e32 v[236:237], s[16:17], v[26:27]
	;; [unrolled: 1-line block ×10, first 2 shown]
	v_mul_f64 v[12:13], v[16:17], s[16:17]
	v_mul_f64 v[14:15], v[238:239], s[14:15]
	;; [unrolled: 1-line block ×4, first 2 shown]
	v_fmac_f64_e32 v[0:1], s[12:13], v[248:249]
	v_fmac_f64_e32 v[2:3], s[12:13], v[250:251]
	;; [unrolled: 1-line block ×8, first 2 shown]
	v_add_f64 v[236:237], v[0:1], -v[12:13]
	v_add_f64 v[240:241], v[2:3], -v[14:15]
	;; [unrolled: 1-line block ×4, first 2 shown]
	s_barrier
	ds_write_b128 v23, v[54:57]
	ds_write_b128 v23, v[64:67] offset:16
	ds_write_b128 v23, v[68:71] offset:32
	;; [unrolled: 1-line block ×9, first 2 shown]
	s_and_saveexec_b64 s[14:15], vcc
	s_cbranch_execz .LBB0_21
; %bb.20:
	v_mul_f64 v[68:69], v[252:253], s[2:3]
	v_mul_f64 v[70:71], v[32:33], s[8:9]
	v_add_f64 v[30:31], v[30:31], -v[68:69]
	v_mul_f64 v[36:37], v[36:37], s[12:13]
	v_mul_f64 v[74:75], v[26:27], s[2:3]
	v_add_f64 v[30:31], v[30:31], -v[70:71]
	v_mul_f64 v[76:77], v[164:165], s[8:9]
	v_add_f64 v[36:37], v[36:37], v[30:31]
	v_add_f64 v[30:31], v[74:75], v[34:35]
	v_mul_f64 v[78:79], v[170:171], s[12:13]
	v_mul_f64 v[80:81], v[164:165], s[2:3]
	v_add_f64 v[30:31], v[76:77], v[30:31]
	v_mul_f64 v[82:83], v[26:27], s[8:9]
	v_add_f64 v[68:69], v[78:79], v[30:31]
	v_add_f64 v[30:31], v[254:255], -v[80:81]
	v_mul_f64 v[32:33], v[32:33], s[2:3]
	v_mul_f64 v[24:25], v[24:25], s[12:13]
	;; [unrolled: 1-line block ×4, first 2 shown]
	v_add_f64 v[30:31], v[82:83], v[30:31]
	v_mul_f64 v[72:73], v[252:253], s[8:9]
	v_mul_f64 v[26:27], v[40:41], s[2:3]
	;; [unrolled: 1-line block ×3, first 2 shown]
	v_add_f64 v[18:19], v[32:33], v[18:19]
	v_add_f64 v[32:33], v[24:25], v[30:31]
	;; [unrolled: 1-line block ×3, first 2 shown]
	v_mul_f64 v[38:39], v[38:39], s[12:13]
	v_mul_f64 v[46:47], v[46:47], s[12:13]
	v_add_f64 v[18:19], v[18:19], -v[72:73]
	v_add_f64 v[24:25], v[24:25], -v[40:41]
	v_mul_f64 v[54:55], v[28:29], s[2:3]
	v_add_f64 v[26:27], v[168:169], -v[26:27]
	v_add_f64 v[18:19], v[38:39], v[18:19]
	v_add_f64 v[38:39], v[46:47], v[24:25]
	;; [unrolled: 1-line block ×3, first 2 shown]
	v_mul_f64 v[56:57], v[246:247], s[8:9]
	v_mul_f64 v[44:45], v[44:45], s[12:13]
	v_add_f64 v[26:27], v[26:27], -v[84:85]
	v_add_f64 v[24:25], v[214:215], v[24:25]
	v_add_f64 v[6:7], v[54:55], v[6:7]
	v_mul_f64 v[58:59], v[248:249], s[12:13]
	v_add_f64 v[44:45], v[44:45], v[26:27]
	v_add_f64 v[24:25], v[234:235], v[24:25]
	;; [unrolled: 1-line block ×3, first 2 shown]
	v_mul_f64 v[64:65], v[246:247], s[2:3]
	v_add_f64 v[42:43], v[50:51], v[24:25]
	v_add_f64 v[50:51], v[58:59], v[6:7]
	v_mul_f64 v[6:7], v[44:45], s[8:9]
	v_mul_f64 v[28:29], v[28:29], s[8:9]
	;; [unrolled: 1-line block ×3, first 2 shown]
	v_fma_f64 v[44:45], v[68:69], s[20:21], -v[6:7]
	v_add_f64 v[6:7], v[10:11], -v[64:65]
	v_mul_f64 v[66:67], v[250:251], s[12:13]
	v_add_f64 v[6:7], v[28:29], v[6:7]
	v_add_f64 v[54:55], v[66:67], v[6:7]
	v_mul_f64 v[6:7], v[38:39], s[2:3]
	v_fma_f64 v[56:57], v[32:33], s[18:19], -v[6:7]
	v_add_f64 v[6:7], v[220:221], v[216:217]
	v_add_f64 v[6:7], v[212:213], v[6:7]
	;; [unrolled: 1-line block ×8, first 2 shown]
	v_fmac_f64_e32 v[70:71], s[8:9], v[68:69]
	v_mul_f64 v[40:41], v[38:39], s[18:19]
	v_add_f64 v[24:25], v[206:207], v[24:25]
	v_add_f64 v[6:7], v[204:205], v[6:7]
	v_add_f64 v[26:27], v[36:37], -v[70:71]
	v_fmac_f64_e32 v[40:41], s[2:3], v[32:33]
	v_add_f64 v[46:47], v[62:63], v[24:25]
	v_add_f64 v[58:59], v[60:61], v[6:7]
	;; [unrolled: 1-line block ×4, first 2 shown]
	v_accvgpr_read_b32 v0, a44
	v_add_f64 v[30:31], v[18:19], -v[40:41]
	v_add_f64 v[34:35], v[42:43], -v[46:47]
	v_add_f64 v[10:11], v[18:19], v[40:41]
	v_add_f64 v[42:43], v[46:47], v[42:43]
	;; [unrolled: 1-line block ×3, first 2 shown]
	v_lshlrev_b32_e32 v0, 4, v0
	v_add_f64 v[24:25], v[50:51], -v[44:45]
	v_add_f64 v[28:29], v[54:55], -v[56:57]
	;; [unrolled: 1-line block ×3, first 2 shown]
	v_add_f64 v[18:19], v[8:9], v[244:245]
	v_add_f64 v[38:39], v[4:5], v[16:17]
	;; [unrolled: 1-line block ×5, first 2 shown]
	ds_write_b128 v0, v[40:43]
	ds_write_b128 v0, v[36:39] offset:16
	ds_write_b128 v0, v[16:19] offset:32
	;; [unrolled: 1-line block ×9, first 2 shown]
.LBB0_21:
	s_or_b64 exec, exec, s[14:15]
	v_accvgpr_read_b32 v75, a61
	v_accvgpr_read_b32 v74, a60
	s_waitcnt lgkmcnt(0)
	s_barrier
	ds_read_b128 v[0:3], v22
	ds_read_b128 v[4:7], v22 offset:1440
	ds_read_b128 v[8:11], v22 offset:2880
	;; [unrolled: 1-line block ×15, first 2 shown]
	v_accvgpr_read_b32 v73, a59
	v_accvgpr_read_b32 v72, a58
	s_waitcnt lgkmcnt(14)
	v_mul_f64 v[70:71], v[74:75], v[6:7]
	v_fmac_f64_e32 v[70:71], v[72:73], v[4:5]
	v_mul_f64 v[4:5], v[74:75], v[4:5]
	v_fma_f64 v[4:5], v[72:73], v[6:7], -v[4:5]
	v_accvgpr_read_b32 v75, a57
	v_accvgpr_read_b32 v74, a56
	v_accvgpr_read_b32 v73, a55
	v_accvgpr_read_b32 v72, a54
	s_waitcnt lgkmcnt(13)
	v_mul_f64 v[6:7], v[74:75], v[10:11]
	v_fmac_f64_e32 v[6:7], v[72:73], v[8:9]
	v_mul_f64 v[8:9], v[74:75], v[8:9]
	v_fma_f64 v[8:9], v[72:73], v[10:11], -v[8:9]
	v_accvgpr_read_b32 v75, a53
	v_accvgpr_read_b32 v74, a52
	v_accvgpr_read_b32 v73, a51
	v_accvgpr_read_b32 v72, a50
	s_waitcnt lgkmcnt(12)
	v_mul_f64 v[10:11], v[74:75], v[14:15]
	v_fmac_f64_e32 v[10:11], v[72:73], v[12:13]
	v_mul_f64 v[12:13], v[74:75], v[12:13]
	v_fma_f64 v[12:13], v[72:73], v[14:15], -v[12:13]
	v_accvgpr_read_b32 v75, a49
	v_accvgpr_read_b32 v74, a48
	v_accvgpr_read_b32 v73, a47
	v_accvgpr_read_b32 v72, a46
	s_waitcnt lgkmcnt(11)
	v_mul_f64 v[14:15], v[74:75], v[18:19]
	v_fmac_f64_e32 v[14:15], v[72:73], v[16:17]
	v_mul_f64 v[16:17], v[74:75], v[16:17]
	v_fma_f64 v[16:17], v[72:73], v[18:19], -v[16:17]
	v_accvgpr_read_b32 v72, a74
	v_accvgpr_read_b32 v74, a76
	v_accvgpr_read_b32 v75, a77
	v_accvgpr_read_b32 v73, a75
	s_waitcnt lgkmcnt(10)
	v_mul_f64 v[18:19], v[74:75], v[26:27]
	v_fmac_f64_e32 v[18:19], v[72:73], v[24:25]
	v_mul_f64 v[24:25], v[74:75], v[24:25]
	v_fma_f64 v[24:25], v[72:73], v[26:27], -v[24:25]
	v_accvgpr_read_b32 v75, a73
	v_accvgpr_read_b32 v74, a72
	v_accvgpr_read_b32 v73, a71
	v_accvgpr_read_b32 v72, a70
	s_waitcnt lgkmcnt(9)
	v_mul_f64 v[26:27], v[74:75], v[30:31]
	v_fmac_f64_e32 v[26:27], v[72:73], v[28:29]
	v_mul_f64 v[28:29], v[74:75], v[28:29]
	v_fma_f64 v[28:29], v[72:73], v[30:31], -v[28:29]
	v_accvgpr_read_b32 v75, a69
	v_accvgpr_read_b32 v74, a68
	v_accvgpr_read_b32 v73, a67
	v_accvgpr_read_b32 v72, a66
	s_waitcnt lgkmcnt(8)
	v_mul_f64 v[30:31], v[74:75], v[34:35]
	v_fmac_f64_e32 v[30:31], v[72:73], v[32:33]
	v_mul_f64 v[32:33], v[74:75], v[32:33]
	v_fma_f64 v[32:33], v[72:73], v[34:35], -v[32:33]
	v_accvgpr_read_b32 v75, a65
	v_accvgpr_read_b32 v74, a64
	v_accvgpr_read_b32 v73, a63
	v_accvgpr_read_b32 v72, a62
	s_waitcnt lgkmcnt(7)
	v_mul_f64 v[34:35], v[74:75], v[38:39]
	v_fmac_f64_e32 v[34:35], v[72:73], v[36:37]
	v_mul_f64 v[36:37], v[74:75], v[36:37]
	v_fma_f64 v[36:37], v[72:73], v[38:39], -v[36:37]
	v_accvgpr_read_b32 v72, a90
	v_accvgpr_read_b32 v74, a92
	v_accvgpr_read_b32 v75, a93
	v_accvgpr_read_b32 v73, a91
	s_waitcnt lgkmcnt(6)
	v_mul_f64 v[38:39], v[74:75], v[42:43]
	v_fmac_f64_e32 v[38:39], v[72:73], v[40:41]
	v_mul_f64 v[40:41], v[74:75], v[40:41]
	v_fma_f64 v[40:41], v[72:73], v[42:43], -v[40:41]
	v_accvgpr_read_b32 v72, a86
	v_accvgpr_read_b32 v74, a88
	v_accvgpr_read_b32 v75, a89
	v_accvgpr_read_b32 v73, a87
	s_waitcnt lgkmcnt(5)
	v_mul_f64 v[42:43], v[74:75], v[46:47]
	v_fmac_f64_e32 v[42:43], v[72:73], v[44:45]
	v_mul_f64 v[44:45], v[74:75], v[44:45]
	v_fma_f64 v[44:45], v[72:73], v[46:47], -v[44:45]
	v_accvgpr_read_b32 v72, a82
	v_accvgpr_read_b32 v74, a84
	v_accvgpr_read_b32 v75, a85
	v_accvgpr_read_b32 v73, a83
	s_waitcnt lgkmcnt(4)
	v_mul_f64 v[46:47], v[74:75], v[50:51]
	v_fmac_f64_e32 v[46:47], v[72:73], v[48:49]
	v_mul_f64 v[48:49], v[74:75], v[48:49]
	v_fma_f64 v[48:49], v[72:73], v[50:51], -v[48:49]
	v_accvgpr_read_b32 v72, a78
	v_accvgpr_read_b32 v74, a80
	v_accvgpr_read_b32 v75, a81
	v_accvgpr_read_b32 v73, a79
	s_waitcnt lgkmcnt(3)
	v_mul_f64 v[50:51], v[74:75], v[56:57]
	v_fmac_f64_e32 v[50:51], v[72:73], v[54:55]
	v_mul_f64 v[54:55], v[74:75], v[54:55]
	v_fma_f64 v[54:55], v[72:73], v[56:57], -v[54:55]
	s_waitcnt lgkmcnt(2)
	v_mul_f64 v[56:57], v[106:107], v[60:61]
	v_fmac_f64_e32 v[56:57], v[104:105], v[58:59]
	v_mul_f64 v[58:59], v[106:107], v[58:59]
	v_fma_f64 v[58:59], v[104:105], v[60:61], -v[58:59]
	s_waitcnt lgkmcnt(1)
	v_mul_f64 v[60:61], v[102:103], v[64:65]
	v_accvgpr_read_b32 v72, a94
	v_fmac_f64_e32 v[60:61], v[100:101], v[62:63]
	v_mul_f64 v[62:63], v[102:103], v[62:63]
	v_accvgpr_read_b32 v74, a96
	v_accvgpr_read_b32 v75, a97
	v_fma_f64 v[62:63], v[100:101], v[64:65], -v[62:63]
	v_accvgpr_read_b32 v73, a95
	s_waitcnt lgkmcnt(0)
	v_mul_f64 v[64:65], v[74:75], v[68:69]
	v_fmac_f64_e32 v[64:65], v[72:73], v[66:67]
	v_mul_f64 v[66:67], v[74:75], v[66:67]
	v_add_f64 v[34:35], v[0:1], -v[34:35]
	v_add_f64 v[50:51], v[14:15], -v[50:51]
	;; [unrolled: 1-line block ×10, first 2 shown]
	s_mov_b32 s2, 0x667f3bcd
	v_fma_f64 v[66:67], v[72:73], v[68:69], -v[66:67]
	v_add_f64 v[36:37], v[2:3], -v[36:37]
	v_fma_f64 v[0:1], v[0:1], 2.0, -v[34:35]
	v_fma_f64 v[14:15], v[14:15], 2.0, -v[50:51]
	;; [unrolled: 1-line block ×3, first 2 shown]
	v_add_f64 v[44:45], v[8:9], -v[44:45]
	v_fma_f64 v[6:7], v[6:7], 2.0, -v[42:43]
	v_fma_f64 v[26:27], v[26:27], 2.0, -v[60:61]
	v_fma_f64 v[28:29], v[28:29], 2.0, -v[62:63]
	v_fma_f64 v[68:69], v[70:71], 2.0, -v[38:39]
	v_fma_f64 v[18:19], v[18:19], 2.0, -v[56:57]
	v_fma_f64 v[10:11], v[10:11], 2.0, -v[46:47]
	v_fma_f64 v[30:31], v[30:31], 2.0, -v[64:65]
	v_add_f64 v[54:55], v[34:35], v[54:55]
	v_add_f64 v[62:63], v[42:43], v[62:63]
	s_mov_b32 s3, 0xbfe6a09e
	s_mov_b32 s9, 0x3fe6a09e
	;; [unrolled: 1-line block ×3, first 2 shown]
	v_add_f64 v[40:41], v[4:5], -v[40:41]
	v_add_f64 v[58:59], v[24:25], -v[58:59]
	;; [unrolled: 1-line block ×6, first 2 shown]
	v_fma_f64 v[34:35], v[34:35], 2.0, -v[54:55]
	v_add_f64 v[26:27], v[6:7], -v[26:27]
	v_add_f64 v[60:61], v[44:45], -v[60:61]
	v_fma_f64 v[42:43], v[42:43], 2.0, -v[62:63]
	v_add_f64 v[18:19], v[68:69], -v[18:19]
	v_add_f64 v[30:31], v[10:11], -v[30:31]
	v_fma_f64 v[80:81], s[8:9], v[62:63], v[54:55]
	v_fma_f64 v[2:3], v[2:3], 2.0, -v[36:37]
	v_fma_f64 v[8:9], v[8:9], 2.0, -v[44:45]
	;; [unrolled: 1-line block ×11, first 2 shown]
	v_add_f64 v[56:57], v[40:41], -v[56:57]
	v_fma_f64 v[10:11], v[10:11], 2.0, -v[30:31]
	v_add_f64 v[64:65], v[48:49], -v[64:65]
	v_fma_f64 v[74:75], s[2:3], v[42:43], v[34:35]
	v_fmac_f64_e32 v[80:81], s[8:9], v[60:61]
	v_add_f64 v[16:17], v[2:3], -v[16:17]
	v_add_f64 v[28:29], v[8:9], -v[28:29]
	;; [unrolled: 1-line block ×3, first 2 shown]
	v_add_f64 v[58:59], v[38:39], v[58:59]
	v_fma_f64 v[40:41], v[40:41], 2.0, -v[56:57]
	v_add_f64 v[32:33], v[12:13], -v[32:33]
	v_add_f64 v[66:67], v[46:47], v[66:67]
	v_fma_f64 v[48:49], v[48:49], 2.0, -v[64:65]
	v_add_f64 v[70:71], v[0:1], -v[6:7]
	v_fma_f64 v[76:77], s[2:3], v[44:45], v[36:37]
	v_fmac_f64_e32 v[74:75], s[8:9], v[44:45]
	v_fma_f64 v[44:45], v[54:55], 2.0, -v[80:81]
	v_add_f64 v[54:55], v[68:69], -v[10:11]
	v_fma_f64 v[2:3], v[2:3], 2.0, -v[16:17]
	v_fma_f64 v[8:9], v[8:9], 2.0, -v[28:29]
	;; [unrolled: 1-line block ×7, first 2 shown]
	v_fma_f64 v[82:83], s[8:9], v[60:61], v[50:51]
	v_fma_f64 v[0:1], v[68:69], 2.0, -v[54:55]
	v_fma_f64 v[68:69], s[2:3], v[48:49], v[40:41]
	v_add_f64 v[72:73], v[2:3], -v[8:9]
	v_fmac_f64_e32 v[76:77], s[2:3], v[42:43]
	v_add_f64 v[42:43], v[14:15], v[28:29]
	v_add_f64 v[78:79], v[16:17], -v[26:27]
	v_fmac_f64_e32 v[82:83], s[2:3], v[62:63]
	v_add_f64 v[60:61], v[4:5], -v[12:13]
	v_fma_f64 v[62:63], s[2:3], v[46:47], v[38:39]
	v_fmac_f64_e32 v[68:69], s[2:3], v[46:47]
	v_add_f64 v[84:85], v[24:25], -v[30:31]
	v_fma_f64 v[88:89], s[8:9], v[64:65], v[56:57]
	v_fma_f64 v[8:9], v[2:3], 2.0, -v[72:73]
	v_fma_f64 v[26:27], v[14:15], 2.0, -v[42:43]
	;; [unrolled: 1-line block ×4, first 2 shown]
	v_fmac_f64_e32 v[62:63], s[8:9], v[48:49]
	v_fma_f64 v[14:15], v[40:41], 2.0, -v[68:69]
	v_add_f64 v[40:41], v[18:19], v[32:33]
	v_fma_f64 v[24:25], v[24:25], 2.0, -v[84:85]
	v_fma_f64 v[86:87], s[8:9], v[66:67], v[58:59]
	v_fmac_f64_e32 v[88:89], s[2:3], v[66:67]
	s_mov_b32 s14, 0xcf328d46
	s_mov_b32 s12, 0xa6aea964
	v_fma_f64 v[34:35], v[34:35], 2.0, -v[74:75]
	v_fma_f64 v[36:37], v[36:37], 2.0, -v[76:77]
	;; [unrolled: 1-line block ×5, first 2 shown]
	v_fmac_f64_e32 v[86:87], s[8:9], v[64:65]
	v_fma_f64 v[38:39], v[56:57], 2.0, -v[88:89]
	v_add_f64 v[0:1], v[6:7], -v[0:1]
	v_add_f64 v[2:3], v[8:9], -v[2:3]
	s_mov_b32 s15, 0xbfed906b
	s_mov_b32 s13, 0x3fd87de2
	s_mov_b32 s17, 0xbfd87de2
	s_mov_b32 s16, s12
	v_fma_f64 v[18:19], s[2:3], v[24:25], v[28:29]
	v_fma_f64 v[32:33], v[58:59], 2.0, -v[86:87]
	v_fma_f64 v[4:5], v[6:7], 2.0, -v[0:1]
	;; [unrolled: 1-line block ×3, first 2 shown]
	v_fma_f64 v[8:9], s[14:15], v[12:13], v[34:35]
	v_fma_f64 v[10:11], s[14:15], v[14:15], v[36:37]
	;; [unrolled: 1-line block ×3, first 2 shown]
	v_fmac_f64_e32 v[18:19], s[2:3], v[30:31]
	v_fma_f64 v[30:31], s[16:17], v[38:39], v[50:51]
	v_fmac_f64_e32 v[8:9], s[12:13], v[14:15]
	v_fmac_f64_e32 v[10:11], s[16:17], v[12:13]
	;; [unrolled: 1-line block ×3, first 2 shown]
	v_fma_f64 v[58:59], s[8:9], v[40:41], v[42:43]
	v_fma_f64 v[12:13], v[34:35], 2.0, -v[8:9]
	v_fma_f64 v[14:15], v[36:37], 2.0, -v[10:11]
	v_fmac_f64_e32 v[16:17], s[8:9], v[24:25]
	s_mov_b32 s19, 0x3fed906b
	s_mov_b32 s18, s14
	v_fma_f64 v[34:35], v[50:51], 2.0, -v[30:31]
	v_add_f64 v[36:37], v[70:71], v[60:61]
	v_fma_f64 v[50:51], s[12:13], v[68:69], v[76:77]
	v_fma_f64 v[60:61], s[8:9], v[84:85], v[78:79]
	v_fmac_f64_e32 v[58:59], s[8:9], v[84:85]
	v_fma_f64 v[24:25], v[26:27], 2.0, -v[16:17]
	v_fma_f64 v[26:27], v[28:29], 2.0, -v[18:19]
	v_fma_f64 v[28:29], s[16:17], v[32:33], v[44:45]
	v_fma_f64 v[48:49], s[12:13], v[62:63], v[74:75]
	v_fmac_f64_e32 v[50:51], s[14:15], v[62:63]
	v_fmac_f64_e32 v[60:61], s[2:3], v[40:41]
	v_fma_f64 v[62:63], v[42:43], 2.0, -v[58:59]
	v_fma_f64 v[40:41], s[18:19], v[86:87], v[80:81]
	v_fma_f64 v[42:43], s[18:19], v[88:89], v[82:83]
	v_fmac_f64_e32 v[28:29], s[18:19], v[38:39]
	v_add_f64 v[38:39], v[72:73], -v[54:55]
	v_fmac_f64_e32 v[48:49], s[18:19], v[68:69]
	v_fmac_f64_e32 v[40:41], s[12:13], v[88:89]
	;; [unrolled: 1-line block ×3, first 2 shown]
	v_fma_f64 v[32:33], v[44:45], 2.0, -v[28:29]
	v_fma_f64 v[44:45], v[70:71], 2.0, -v[36:37]
	;; [unrolled: 1-line block ×8, first 2 shown]
	s_barrier
	ds_write_b128 v52, v[4:7]
	ds_write_b128 v52, v[12:15] offset:160
	ds_write_b128 v52, v[24:27] offset:320
	;; [unrolled: 1-line block ×15, first 2 shown]
	s_waitcnt lgkmcnt(0)
	s_barrier
	ds_read_b128 v[68:71], v22
	ds_read_b128 v[64:67], v22 offset:1440
	ds_read_b128 v[76:79], v22 offset:15360
	;; [unrolled: 1-line block ×14, first 2 shown]
	s_and_saveexec_b64 s[2:3], s[0:1]
	s_cbranch_execz .LBB0_23
; %bb.22:
	ds_read_b128 v[40:43], v22 offset:7200
	ds_read_b128 v[236:239], v22 offset:14880
	;; [unrolled: 1-line block ×3, first 2 shown]
.LBB0_23:
	s_or_b64 exec, exec, s[2:3]
	s_waitcnt lgkmcnt(0)
	v_mul_f64 v[84:85], v[142:143], v[2:3]
	v_mul_f64 v[24:25], v[114:115], v[82:83]
	;; [unrolled: 1-line block ×4, first 2 shown]
	v_fmac_f64_e32 v[84:85], v[140:141], v[0:1]
	v_mul_f64 v[0:1], v[142:143], v[0:1]
	v_fmac_f64_e32 v[24:25], v[112:113], v[80:81]
	v_mul_f64 v[26:27], v[114:115], v[80:81]
	;; [unrolled: 2-line block ×4, first 2 shown]
	v_mul_f64 v[48:49], v[130:131], v[46:47]
	v_mul_f64 v[80:81], v[146:147], v[6:7]
	v_fma_f64 v[86:87], v[140:141], v[2:3], -v[0:1]
	v_mul_f64 v[0:1], v[154:155], v[236:237]
	v_fma_f64 v[26:27], v[112:113], v[82:83], -v[26:27]
	v_fma_f64 v[30:31], v[108:109], v[78:79], -v[30:31]
	v_mul_f64 v[32:33], v[122:123], v[74:75]
	v_fmac_f64_e32 v[48:49], v[128:129], v[44:45]
	v_mul_f64 v[44:45], v[130:131], v[44:45]
	v_mul_f64 v[76:77], v[134:135], v[10:11]
	v_fmac_f64_e32 v[80:81], v[144:145], v[4:5]
	v_mul_f64 v[4:5], v[146:147], v[4:5]
	v_fma_f64 v[90:91], v[152:153], v[238:239], -v[0:1]
	v_mul_f64 v[0:1], v[150:151], v[240:241]
	v_add_f64 v[2:3], v[24:25], v[28:29]
	s_mov_b32 s2, 0xe8584caa
	v_fmac_f64_e32 v[32:33], v[120:121], v[72:73]
	v_mul_f64 v[34:35], v[122:123], v[72:73]
	v_fma_f64 v[44:45], v[128:129], v[46:47], -v[44:45]
	v_mul_f64 v[46:47], v[126:127], v[14:15]
	v_fmac_f64_e32 v[76:77], v[132:133], v[8:9]
	v_mul_f64 v[8:9], v[134:135], v[8:9]
	v_fma_f64 v[82:83], v[144:145], v[6:7], -v[4:5]
	v_fma_f64 v[94:95], v[148:149], v[242:243], -v[0:1]
	v_add_f64 v[0:1], v[68:69], v[24:25]
	v_fmac_f64_e32 v[68:69], -0.5, v[2:3]
	v_add_f64 v[2:3], v[26:27], -v[30:31]
	s_mov_b32 s3, 0xbfebb67a
	s_mov_b32 s9, 0x3febb67a
	;; [unrolled: 1-line block ×3, first 2 shown]
	v_add_f64 v[6:7], v[26:27], v[30:31]
	v_fma_f64 v[34:35], v[120:121], v[74:75], -v[34:35]
	v_fma_f64 v[38:39], v[116:117], v[50:51], -v[38:39]
	v_fmac_f64_e32 v[46:47], v[124:125], v[12:13]
	v_mul_f64 v[12:13], v[126:127], v[12:13]
	v_fma_f64 v[78:79], v[132:133], v[10:11], -v[8:9]
	v_fma_f64 v[4:5], s[2:3], v[2:3], v[68:69]
	v_fmac_f64_e32 v[68:69], s[8:9], v[2:3]
	v_add_f64 v[2:3], v[70:71], v[26:27]
	v_fmac_f64_e32 v[70:71], -0.5, v[6:7]
	v_add_f64 v[8:9], v[24:25], -v[28:29]
	v_add_f64 v[10:11], v[32:33], v[36:37]
	v_fma_f64 v[50:51], v[124:125], v[14:15], -v[12:13]
	v_mul_f64 v[72:73], v[138:139], v[18:19]
	v_mul_f64 v[12:13], v[138:139], v[16:17]
	v_fma_f64 v[6:7], s[8:9], v[8:9], v[70:71]
	v_fmac_f64_e32 v[70:71], s[2:3], v[8:9]
	v_add_f64 v[8:9], v[64:65], v[32:33]
	v_fmac_f64_e32 v[64:65], -0.5, v[10:11]
	v_add_f64 v[10:11], v[34:35], -v[38:39]
	v_add_f64 v[14:15], v[34:35], v[38:39]
	v_fmac_f64_e32 v[72:73], v[136:137], v[16:17]
	v_fma_f64 v[74:75], v[136:137], v[18:19], -v[12:13]
	v_fma_f64 v[12:13], s[2:3], v[10:11], v[64:65]
	v_fmac_f64_e32 v[64:65], s[8:9], v[10:11]
	v_add_f64 v[10:11], v[66:67], v[34:35]
	v_fmac_f64_e32 v[66:67], -0.5, v[14:15]
	v_add_f64 v[16:17], v[32:33], -v[36:37]
	v_add_f64 v[18:19], v[48:49], v[46:47]
	v_fma_f64 v[14:15], s[8:9], v[16:17], v[66:67]
	v_fmac_f64_e32 v[66:67], s[2:3], v[16:17]
	v_add_f64 v[16:17], v[60:61], v[48:49]
	v_fmac_f64_e32 v[60:61], -0.5, v[18:19]
	v_add_f64 v[18:19], v[44:45], -v[50:51]
	v_add_f64 v[26:27], v[44:45], v[50:51]
	v_add_f64 v[0:1], v[0:1], v[28:29]
	;; [unrolled: 1-line block ×3, first 2 shown]
	v_fma_f64 v[24:25], s[2:3], v[18:19], v[60:61]
	v_fmac_f64_e32 v[60:61], s[8:9], v[18:19]
	v_add_f64 v[18:19], v[62:63], v[44:45]
	v_fmac_f64_e32 v[62:63], -0.5, v[26:27]
	v_add_f64 v[28:29], v[48:49], -v[46:47]
	v_add_f64 v[30:31], v[72:73], v[76:77]
	v_fma_f64 v[26:27], s[8:9], v[28:29], v[62:63]
	v_fmac_f64_e32 v[62:63], s[2:3], v[28:29]
	v_add_f64 v[28:29], v[56:57], v[72:73]
	v_fmac_f64_e32 v[56:57], -0.5, v[30:31]
	v_add_f64 v[30:31], v[74:75], -v[78:79]
	v_add_f64 v[34:35], v[74:75], v[78:79]
	v_mul_f64 v[88:89], v[154:155], v[238:239]
	v_mul_f64 v[92:93], v[150:151], v[242:243]
	v_add_f64 v[8:9], v[8:9], v[36:37]
	v_add_f64 v[10:11], v[10:11], v[38:39]
	v_fma_f64 v[32:33], s[2:3], v[30:31], v[56:57]
	v_fmac_f64_e32 v[56:57], s[8:9], v[30:31]
	v_add_f64 v[30:31], v[58:59], v[74:75]
	v_fmac_f64_e32 v[58:59], -0.5, v[34:35]
	v_add_f64 v[36:37], v[72:73], -v[76:77]
	v_add_f64 v[38:39], v[80:81], v[84:85]
	v_fmac_f64_e32 v[88:89], v[152:153], v[236:237]
	v_fmac_f64_e32 v[92:93], v[148:149], v[240:241]
	v_fma_f64 v[34:35], s[8:9], v[36:37], v[58:59]
	v_fmac_f64_e32 v[58:59], s[2:3], v[36:37]
	v_add_f64 v[36:37], v[52:53], v[80:81]
	v_fmac_f64_e32 v[52:53], -0.5, v[38:39]
	v_add_f64 v[38:39], v[82:83], -v[86:87]
	v_add_f64 v[44:45], v[82:83], v[86:87]
	v_add_f64 v[16:17], v[16:17], v[46:47]
	v_fma_f64 v[72:73], s[2:3], v[38:39], v[52:53]
	v_fmac_f64_e32 v[52:53], s[8:9], v[38:39]
	v_add_f64 v[38:39], v[54:55], v[82:83]
	v_fmac_f64_e32 v[54:55], -0.5, v[44:45]
	v_add_f64 v[44:45], v[80:81], -v[84:85]
	v_add_f64 v[46:47], v[88:89], v[92:93]
	v_add_f64 v[18:19], v[18:19], v[50:51]
	v_fma_f64 v[74:75], s[8:9], v[44:45], v[54:55]
	v_fmac_f64_e32 v[54:55], s[2:3], v[44:45]
	v_add_f64 v[44:45], v[40:41], v[88:89]
	v_fmac_f64_e32 v[40:41], -0.5, v[46:47]
	v_add_f64 v[46:47], v[90:91], -v[94:95]
	v_add_f64 v[50:51], v[90:91], v[94:95]
	s_barrier
	ds_write_b128 v22, v[0:3]
	ds_write_b128 v22, v[4:7] offset:2560
	ds_write_b128 v22, v[68:71] offset:5120
	v_accvgpr_read_b32 v0, a99
	v_add_f64 v[28:29], v[28:29], v[76:77]
	v_add_f64 v[30:31], v[30:31], v[78:79]
	v_fma_f64 v[48:49], s[2:3], v[46:47], v[40:41]
	v_fmac_f64_e32 v[40:41], s[8:9], v[46:47]
	v_add_f64 v[46:47], v[42:43], v[90:91]
	v_fmac_f64_e32 v[42:43], -0.5, v[50:51]
	v_add_f64 v[76:77], v[88:89], -v[92:93]
	ds_write_b128 v0, v[8:11]
	ds_write_b128 v0, v[12:15] offset:2560
	ds_write_b128 v0, v[64:67] offset:5120
	;; [unrolled: 1-line block ×5, first 2 shown]
	v_accvgpr_read_b32 v0, a100
	v_add_f64 v[36:37], v[36:37], v[84:85]
	v_add_f64 v[38:39], v[38:39], v[86:87]
	;; [unrolled: 1-line block ×4, first 2 shown]
	v_fma_f64 v[50:51], s[8:9], v[76:77], v[42:43]
	v_fmac_f64_e32 v[42:43], s[2:3], v[76:77]
	ds_write_b128 v0, v[28:31]
	ds_write_b128 v0, v[32:35] offset:2560
	ds_write_b128 v0, v[56:59] offset:5120
	v_accvgpr_read_b32 v0, a101
	ds_write_b128 v0, v[36:39] offset:15360
	ds_write_b128 v0, v[72:75] offset:17920
	;; [unrolled: 1-line block ×3, first 2 shown]
	s_and_saveexec_b64 s[2:3], s[0:1]
	s_cbranch_execz .LBB0_25
; %bb.24:
	v_accvgpr_read_b32 v0, a98
	ds_write_b128 v0, v[44:47] offset:15360
	ds_write_b128 v0, v[48:51] offset:17920
	;; [unrolled: 1-line block ×3, first 2 shown]
.LBB0_25:
	s_or_b64 exec, exec, s[2:3]
	s_waitcnt lgkmcnt(0)
	s_barrier
	ds_read_b128 v[0:3], v22
	ds_read_b128 v[64:67], v22 offset:1440
	ds_read_b128 v[84:87], v22 offset:15360
	;; [unrolled: 1-line block ×14, first 2 shown]
	s_and_saveexec_b64 s[2:3], s[0:1]
	s_cbranch_execz .LBB0_27
; %bb.26:
	ds_read_b128 v[44:47], v22 offset:7200
	ds_read_b128 v[48:51], v22 offset:14880
	;; [unrolled: 1-line block ×3, first 2 shown]
.LBB0_27:
	s_or_b64 exec, exec, s[2:3]
	s_waitcnt lgkmcnt(11)
	v_mul_f64 v[36:37], v[178:179], v[78:79]
	v_fmac_f64_e32 v[36:37], v[176:177], v[76:77]
	v_mul_f64 v[38:39], v[178:179], v[76:77]
	s_waitcnt lgkmcnt(9)
	v_mul_f64 v[76:77], v[182:183], v[74:75]
	v_fmac_f64_e32 v[76:77], v[180:181], v[72:73]
	v_mul_f64 v[72:73], v[182:183], v[72:73]
	s_waitcnt lgkmcnt(4)
	v_mul_f64 v[24:25], v[158:159], v[90:91]
	v_fma_f64 v[72:73], v[180:181], v[74:75], -v[72:73]
	v_mul_f64 v[74:75], v[186:187], v[18:19]
	v_fmac_f64_e32 v[24:25], v[156:157], v[88:89]
	v_mul_f64 v[26:27], v[158:159], v[88:89]
	v_mul_f64 v[28:29], v[162:163], v[86:87]
	;; [unrolled: 1-line block ×3, first 2 shown]
	v_fmac_f64_e32 v[74:75], v[184:185], v[16:17]
	v_mul_f64 v[16:17], v[186:187], v[16:17]
	s_waitcnt lgkmcnt(0)
	v_mul_f64 v[88:89], v[202:203], v[6:7]
	v_fmac_f64_e32 v[28:29], v[160:161], v[84:85]
	v_mul_f64 v[30:31], v[162:163], v[84:85]
	v_fmac_f64_e32 v[32:33], v[172:173], v[80:81]
	v_mul_f64 v[34:35], v[174:175], v[80:81]
	v_fma_f64 v[38:39], v[176:177], v[78:79], -v[38:39]
	v_fma_f64 v[78:79], v[184:185], v[18:19], -v[16:17]
	v_mul_f64 v[80:81], v[190:191], v[70:71]
	v_mul_f64 v[16:17], v[190:191], v[68:69]
	;; [unrolled: 1-line block ×3, first 2 shown]
	v_fmac_f64_e32 v[88:89], v[200:201], v[4:5]
	v_mul_f64 v[4:5], v[202:203], v[4:5]
	v_fma_f64 v[26:27], v[156:157], v[90:91], -v[26:27]
	v_fma_f64 v[30:31], v[160:161], v[86:87], -v[30:31]
	v_fmac_f64_e32 v[80:81], v[188:189], v[68:69]
	v_fma_f64 v[68:69], v[188:189], v[70:71], -v[16:17]
	v_mul_f64 v[70:71], v[194:195], v[14:15]
	v_fmac_f64_e32 v[84:85], v[196:197], v[8:9]
	v_mul_f64 v[8:9], v[198:199], v[8:9]
	v_fma_f64 v[90:91], v[200:201], v[6:7], -v[4:5]
	v_add_f64 v[6:7], v[24:25], v[28:29]
	s_mov_b32 s2, 0xe8584caa
	v_fmac_f64_e32 v[70:71], v[192:193], v[12:13]
	v_mul_f64 v[12:13], v[194:195], v[12:13]
	v_fma_f64 v[86:87], v[196:197], v[10:11], -v[8:9]
	v_add_f64 v[4:5], v[0:1], v[24:25]
	v_fmac_f64_e32 v[0:1], -0.5, v[6:7]
	v_add_f64 v[6:7], v[26:27], -v[30:31]
	s_mov_b32 s3, 0xbfebb67a
	s_mov_b32 s8, s2
	v_add_f64 v[10:11], v[26:27], v[30:31]
	v_fma_f64 v[34:35], v[172:173], v[82:83], -v[34:35]
	v_fma_f64 v[82:83], v[192:193], v[14:15], -v[12:13]
	v_fma_f64 v[8:9], s[2:3], v[6:7], v[0:1]
	v_fmac_f64_e32 v[0:1], s[8:9], v[6:7]
	v_add_f64 v[6:7], v[2:3], v[26:27]
	v_fmac_f64_e32 v[2:3], -0.5, v[10:11]
	v_add_f64 v[12:13], v[24:25], -v[28:29]
	v_add_f64 v[14:15], v[32:33], v[36:37]
	v_fma_f64 v[10:11], s[8:9], v[12:13], v[2:3]
	v_fmac_f64_e32 v[2:3], s[2:3], v[12:13]
	v_add_f64 v[12:13], v[64:65], v[32:33]
	v_fmac_f64_e32 v[64:65], -0.5, v[14:15]
	v_add_f64 v[14:15], v[34:35], -v[38:39]
	v_add_f64 v[18:19], v[34:35], v[38:39]
	;; [unrolled: 6-line block ×3, first 2 shown]
	v_add_f64 v[6:7], v[6:7], v[30:31]
	v_fma_f64 v[18:19], s[8:9], v[24:25], v[66:67]
	v_fmac_f64_e32 v[66:67], s[2:3], v[24:25]
	v_add_f64 v[24:25], v[60:61], v[76:77]
	v_fmac_f64_e32 v[60:61], -0.5, v[26:27]
	v_add_f64 v[26:27], v[72:73], -v[78:79]
	v_add_f64 v[30:31], v[72:73], v[78:79]
	v_add_f64 v[4:5], v[4:5], v[28:29]
	v_fma_f64 v[28:29], s[2:3], v[26:27], v[60:61]
	v_fmac_f64_e32 v[60:61], s[8:9], v[26:27]
	v_add_f64 v[26:27], v[62:63], v[72:73]
	v_fmac_f64_e32 v[62:63], -0.5, v[30:31]
	v_add_f64 v[32:33], v[76:77], -v[74:75]
	v_add_f64 v[34:35], v[80:81], v[70:71]
	;; [unrolled: 7-line block ×3, first 2 shown]
	v_add_f64 v[12:13], v[12:13], v[36:37]
	v_add_f64 v[32:33], v[32:33], v[70:71]
	v_fma_f64 v[36:37], s[2:3], v[34:35], v[56:57]
	v_fmac_f64_e32 v[56:57], s[8:9], v[34:35]
	v_add_f64 v[34:35], v[58:59], v[68:69]
	v_fmac_f64_e32 v[58:59], -0.5, v[38:39]
	v_add_f64 v[68:69], v[80:81], -v[70:71]
	v_add_f64 v[70:71], v[84:85], v[88:89]
	v_add_f64 v[24:25], v[24:25], v[74:75]
	v_fma_f64 v[38:39], s[8:9], v[68:69], v[58:59]
	v_fmac_f64_e32 v[58:59], s[2:3], v[68:69]
	v_add_f64 v[68:69], v[52:53], v[84:85]
	v_fmac_f64_e32 v[52:53], -0.5, v[70:71]
	v_add_f64 v[70:71], v[86:87], -v[90:91]
	v_add_f64 v[74:75], v[86:87], v[90:91]
	v_fma_f64 v[72:73], s[2:3], v[70:71], v[52:53]
	v_fmac_f64_e32 v[52:53], s[8:9], v[70:71]
	v_add_f64 v[70:71], v[54:55], v[86:87]
	v_fmac_f64_e32 v[54:55], -0.5, v[74:75]
	v_add_f64 v[76:77], v[84:85], -v[88:89]
	v_add_f64 v[26:27], v[26:27], v[78:79]
	v_add_f64 v[34:35], v[34:35], v[82:83]
	;; [unrolled: 1-line block ×4, first 2 shown]
	v_fma_f64 v[74:75], s[8:9], v[76:77], v[54:55]
	v_fmac_f64_e32 v[54:55], s[2:3], v[76:77]
	ds_write_b128 v22, v[4:7]
	ds_write_b128 v22, v[8:11] offset:7680
	ds_write_b128 v22, v[0:3] offset:15360
	;; [unrolled: 1-line block ×14, first 2 shown]
	s_and_saveexec_b64 s[12:13], s[0:1]
	s_cbranch_execz .LBB0_29
; %bb.28:
	v_accvgpr_read_b32 v10, a102
	v_accvgpr_read_b32 v12, a104
	;; [unrolled: 1-line block ×5, first 2 shown]
	v_mul_f64 v[0:1], v[12:13], v[48:49]
	v_accvgpr_read_b32 v18, a108
	v_accvgpr_read_b32 v19, a109
	v_fma_f64 v[4:5], v[10:11], v[50:51], -v[0:1]
	v_accvgpr_read_b32 v17, a107
	v_mul_f64 v[0:1], v[18:19], v[40:41]
	v_fma_f64 v[8:9], v[16:17], v[42:43], -v[0:1]
	v_mul_f64 v[12:13], v[12:13], v[50:51]
	v_mul_f64 v[14:15], v[18:19], v[42:43]
	v_add_f64 v[0:1], v[4:5], v[8:9]
	v_fmac_f64_e32 v[12:13], v[10:11], v[48:49]
	v_fmac_f64_e32 v[14:15], v[16:17], v[40:41]
	v_fma_f64 v[2:3], -0.5, v[0:1], v[46:47]
	v_add_f64 v[0:1], v[12:13], -v[14:15]
	v_fma_f64 v[6:7], s[2:3], v[0:1], v[2:3]
	v_fmac_f64_e32 v[2:3], s[8:9], v[0:1]
	v_add_f64 v[0:1], v[46:47], v[4:5]
	v_add_f64 v[10:11], v[0:1], v[8:9]
	;; [unrolled: 1-line block ×3, first 2 shown]
	v_fma_f64 v[0:1], -0.5, v[0:1], v[44:45]
	v_add_f64 v[8:9], v[4:5], -v[8:9]
	v_fma_f64 v[4:5], s[8:9], v[8:9], v[0:1]
	v_fmac_f64_e32 v[0:1], s[2:3], v[8:9]
	v_add_f64 v[8:9], v[44:45], v[12:13]
	v_add_f64 v[8:9], v[8:9], v[14:15]
	ds_write_b128 v22, v[8:11] offset:7200
	ds_write_b128 v22, v[0:3] offset:14880
	;; [unrolled: 1-line block ×3, first 2 shown]
.LBB0_29:
	s_or_b64 exec, exec, s[12:13]
	s_waitcnt lgkmcnt(0)
	s_barrier
	ds_read_b128 v[0:3], v22
	v_accvgpr_read_b32 v6, a2
	v_mad_u64_u32 v[14:15], s[0:1], s6, v6, 0
	v_mov_b32_e32 v4, v15
	v_accvgpr_read_b32 v16, a28
	v_mad_u64_u32 v[4:5], s[0:1], s7, v6, v[4:5]
	v_accvgpr_read_b32 v18, a30
	v_accvgpr_read_b32 v19, a31
	v_mov_b32_e32 v15, v4
	ds_read_b128 v[4:7], v22 offset:2304
	v_accvgpr_read_b32 v17, a29
	s_waitcnt lgkmcnt(1)
	v_mul_f64 v[8:9], v[18:19], v[2:3]
	v_fmac_f64_e32 v[8:9], v[16:17], v[0:1]
	s_mov_b32 s0, 0x16c16c17
	v_mul_f64 v[0:1], v[18:19], v[0:1]
	s_mov_b32 s1, 0x3f46c16c
	v_fma_f64 v[0:1], v[16:17], v[2:3], -v[0:1]
	v_accvgpr_read_b32 v16, a0
	v_mul_f64 v[10:11], v[0:1], s[0:1]
	v_mad_u64_u32 v[0:1], s[2:3], s4, v16, 0
	v_mov_b32_e32 v2, v1
	v_mov_b32_e32 v12, s10
	;; [unrolled: 1-line block ×3, first 2 shown]
	v_mad_u64_u32 v[2:3], s[2:3], s5, v16, v[2:3]
	v_mov_b32_e32 v1, v2
	v_lshl_add_u64 v[12:13], v[14:15], 4, v[12:13]
	v_mul_f64 v[8:9], v[8:9], s[0:1]
	v_lshl_add_u64 v[14:15], v[0:1], 4, v[12:13]
	global_store_dwordx4 v[14:15], v[8:11], off
	s_mul_i32 s2, s5, 0x90
	s_mul_hi_u32 s3, s4, 0x90
	v_accvgpr_read_b32 v11, a7
	v_accvgpr_read_b32 v10, a6
	;; [unrolled: 1-line block ×4, first 2 shown]
	s_waitcnt lgkmcnt(0)
	v_mul_f64 v[0:1], v[10:11], v[6:7]
	v_mul_f64 v[2:3], v[10:11], v[4:5]
	v_fmac_f64_e32 v[0:1], v[8:9], v[4:5]
	v_fma_f64 v[2:3], v[8:9], v[6:7], -v[2:3]
	ds_read_b128 v[4:7], v22 offset:4608
	s_add_i32 s3, s3, s2
	s_mul_i32 s2, s4, 0x90
	s_lshl_b64 s[2:3], s[2:3], 4
	v_accvgpr_read_b32 v16, a24
	v_mul_f64 v[0:1], v[0:1], s[0:1]
	v_mul_f64 v[2:3], v[2:3], s[0:1]
	v_lshl_add_u64 v[14:15], v[14:15], 0, s[2:3]
	v_accvgpr_read_b32 v18, a26
	v_accvgpr_read_b32 v19, a27
	global_store_dwordx4 v[14:15], v[0:3], off
	ds_read_b128 v[0:3], v22 offset:6912
	v_accvgpr_read_b32 v17, a25
	s_waitcnt lgkmcnt(1)
	v_mul_f64 v[8:9], v[18:19], v[6:7]
	v_fmac_f64_e32 v[8:9], v[16:17], v[4:5]
	v_mul_f64 v[4:5], v[18:19], v[4:5]
	v_fma_f64 v[4:5], v[16:17], v[6:7], -v[4:5]
	v_mul_f64 v[8:9], v[8:9], s[0:1]
	v_mul_f64 v[10:11], v[4:5], s[0:1]
	v_lshl_add_u64 v[14:15], v[14:15], 0, s[2:3]
	global_store_dwordx4 v[14:15], v[8:11], off
	v_accvgpr_read_b32 v6, a8
	v_accvgpr_read_b32 v7, a9
	;; [unrolled: 1-line block ×4, first 2 shown]
	s_waitcnt lgkmcnt(0)
	v_mul_f64 v[4:5], v[8:9], v[2:3]
	v_fmac_f64_e32 v[4:5], v[6:7], v[0:1]
	v_mul_f64 v[0:1], v[8:9], v[0:1]
	v_fma_f64 v[6:7], v[6:7], v[2:3], -v[0:1]
	ds_read_b128 v[0:3], v22 offset:9216
	v_accvgpr_read_b32 v16, a36
	v_mul_f64 v[4:5], v[4:5], s[0:1]
	v_mul_f64 v[6:7], v[6:7], s[0:1]
	v_lshl_add_u64 v[14:15], v[14:15], 0, s[2:3]
	v_accvgpr_read_b32 v18, a38
	v_accvgpr_read_b32 v19, a39
	global_store_dwordx4 v[14:15], v[4:7], off
	ds_read_b128 v[4:7], v22 offset:11520
	v_accvgpr_read_b32 v17, a37
	s_waitcnt lgkmcnt(1)
	v_mul_f64 v[8:9], v[18:19], v[2:3]
	v_fmac_f64_e32 v[8:9], v[16:17], v[0:1]
	v_mul_f64 v[0:1], v[18:19], v[0:1]
	v_fma_f64 v[0:1], v[16:17], v[2:3], -v[0:1]
	v_mul_f64 v[8:9], v[8:9], s[0:1]
	v_mul_f64 v[10:11], v[0:1], s[0:1]
	v_lshl_add_u64 v[14:15], v[14:15], 0, s[2:3]
	global_store_dwordx4 v[14:15], v[8:11], off
	v_accvgpr_read_b32 v16, a40
	v_lshl_add_u64 v[14:15], v[14:15], 0, s[2:3]
	v_accvgpr_read_b32 v8, a12
	v_accvgpr_read_b32 v10, a14
	;; [unrolled: 1-line block ×4, first 2 shown]
	s_waitcnt lgkmcnt(0)
	v_mul_f64 v[0:1], v[10:11], v[6:7]
	v_mul_f64 v[2:3], v[10:11], v[4:5]
	v_fmac_f64_e32 v[0:1], v[8:9], v[4:5]
	v_fma_f64 v[2:3], v[8:9], v[6:7], -v[2:3]
	ds_read_b128 v[4:7], v22 offset:13824
	v_mul_f64 v[0:1], v[0:1], s[0:1]
	v_mul_f64 v[2:3], v[2:3], s[0:1]
	v_accvgpr_read_b32 v18, a42
	v_accvgpr_read_b32 v19, a43
	global_store_dwordx4 v[14:15], v[0:3], off
	ds_read_b128 v[0:3], v22 offset:16128
	v_accvgpr_read_b32 v17, a41
	s_waitcnt lgkmcnt(1)
	v_mul_f64 v[8:9], v[18:19], v[6:7]
	v_fmac_f64_e32 v[8:9], v[16:17], v[4:5]
	v_mul_f64 v[4:5], v[18:19], v[4:5]
	v_fma_f64 v[4:5], v[16:17], v[6:7], -v[4:5]
	v_mul_f64 v[8:9], v[8:9], s[0:1]
	v_mul_f64 v[10:11], v[4:5], s[0:1]
	v_lshl_add_u64 v[14:15], v[14:15], 0, s[2:3]
	global_store_dwordx4 v[14:15], v[8:11], off
	v_accvgpr_read_b32 v6, a20
	v_accvgpr_read_b32 v7, a21
	;; [unrolled: 1-line block ×4, first 2 shown]
	s_waitcnt lgkmcnt(0)
	v_mul_f64 v[4:5], v[8:9], v[2:3]
	v_fmac_f64_e32 v[4:5], v[6:7], v[0:1]
	v_mul_f64 v[0:1], v[8:9], v[0:1]
	v_fma_f64 v[6:7], v[6:7], v[2:3], -v[0:1]
	ds_read_b128 v[0:3], v22 offset:18432
	v_accvgpr_read_b32 v16, a16
	v_mul_f64 v[4:5], v[4:5], s[0:1]
	v_mul_f64 v[6:7], v[6:7], s[0:1]
	v_lshl_add_u64 v[14:15], v[14:15], 0, s[2:3]
	v_accvgpr_read_b32 v18, a18
	v_accvgpr_read_b32 v19, a19
	global_store_dwordx4 v[14:15], v[4:7], off
	ds_read_b128 v[4:7], v22 offset:20736
	v_accvgpr_read_b32 v17, a17
	s_waitcnt lgkmcnt(1)
	v_mul_f64 v[8:9], v[18:19], v[2:3]
	v_fmac_f64_e32 v[8:9], v[16:17], v[0:1]
	v_mul_f64 v[0:1], v[18:19], v[0:1]
	v_fma_f64 v[0:1], v[16:17], v[2:3], -v[0:1]
	v_accvgpr_read_b32 v3, a3
	v_mul_f64 v[10:11], v[0:1], s[0:1]
	v_mad_u64_u32 v[0:1], s[6:7], s4, v3, 0
	v_mov_b32_e32 v2, v1
	v_mad_u64_u32 v[2:3], s[6:7], s5, v3, v[2:3]
	v_mov_b32_e32 v1, v2
	v_mul_f64 v[8:9], v[8:9], s[0:1]
	v_lshl_add_u64 v[0:1], v[0:1], 4, v[12:13]
	global_store_dwordx4 v[0:1], v[8:11], off
	s_nop 1
	v_accvgpr_read_b32 v8, a32
	v_accvgpr_read_b32 v10, a34
	;; [unrolled: 1-line block ×4, first 2 shown]
	s_waitcnt lgkmcnt(0)
	v_mul_f64 v[0:1], v[10:11], v[6:7]
	v_fmac_f64_e32 v[0:1], v[8:9], v[4:5]
	v_mul_f64 v[2:3], v[0:1], s[0:1]
	v_mul_f64 v[0:1], v[10:11], v[4:5]
	v_fma_f64 v[0:1], v[8:9], v[6:7], -v[0:1]
	v_mul_f64 v[4:5], v[0:1], s[0:1]
	v_mov_b32_e32 v0, 0x1200
	v_mad_u64_u32 v[0:1], s[6:7], s4, v0, v[14:15]
	s_mul_i32 s6, s5, 0x1200
	s_nop 0
	v_add_u32_e32 v1, s6, v1
	global_store_dwordx4 v[0:1], v[2:5], off
	s_and_b64 exec, exec, vcc
	s_cbranch_execz .LBB0_31
; %bb.30:
	global_load_dwordx4 v[2:5], v[20:21], off offset:1440
	ds_read_b128 v[6:9], v22 offset:1440
	ds_read_b128 v[10:13], v22 offset:3744
	v_mov_b32_e32 v14, 0xffffb4a0
	s_mulk_i32 s5, 0xb4a0
	v_mad_u64_u32 v[14:15], s[6:7], s4, v14, v[0:1]
	s_sub_i32 s4, s5, s4
	v_add_u32_e32 v15, s4, v15
	s_movk_i32 s4, 0x1000
	s_waitcnt vmcnt(0) lgkmcnt(1)
	v_mul_f64 v[0:1], v[8:9], v[4:5]
	v_mul_f64 v[4:5], v[6:7], v[4:5]
	v_fmac_f64_e32 v[0:1], v[6:7], v[2:3]
	v_fma_f64 v[2:3], v[2:3], v[8:9], -v[4:5]
	v_mul_f64 v[0:1], v[0:1], s[0:1]
	v_mul_f64 v[2:3], v[2:3], s[0:1]
	global_store_dwordx4 v[14:15], v[0:3], off
	global_load_dwordx4 v[0:3], v[20:21], off offset:3744
	v_add_co_u32_e32 v4, vcc, s4, v20
	v_lshl_add_u64 v[14:15], v[14:15], 0, s[2:3]
	s_nop 0
	v_addc_co_u32_e32 v5, vcc, 0, v21, vcc
	s_movk_i32 s4, 0x2000
	s_waitcnt vmcnt(0) lgkmcnt(0)
	v_mul_f64 v[6:7], v[12:13], v[2:3]
	v_mul_f64 v[2:3], v[10:11], v[2:3]
	v_fmac_f64_e32 v[6:7], v[10:11], v[0:1]
	v_fma_f64 v[2:3], v[0:1], v[12:13], -v[2:3]
	v_mul_f64 v[0:1], v[6:7], s[0:1]
	v_mul_f64 v[2:3], v[2:3], s[0:1]
	global_store_dwordx4 v[14:15], v[0:3], off
	global_load_dwordx4 v[0:3], v[4:5], off offset:1952
	ds_read_b128 v[4:7], v22 offset:6048
	ds_read_b128 v[8:11], v22 offset:8352
	v_add_co_u32_e32 v12, vcc, s4, v20
	v_lshl_add_u64 v[14:15], v[14:15], 0, s[2:3]
	s_nop 0
	v_addc_co_u32_e32 v13, vcc, 0, v21, vcc
	s_movk_i32 s4, 0x3000
	s_waitcnt vmcnt(0) lgkmcnt(1)
	v_mul_f64 v[16:17], v[6:7], v[2:3]
	v_mul_f64 v[2:3], v[4:5], v[2:3]
	v_fmac_f64_e32 v[16:17], v[4:5], v[0:1]
	v_fma_f64 v[2:3], v[0:1], v[6:7], -v[2:3]
	v_mul_f64 v[0:1], v[16:17], s[0:1]
	v_mul_f64 v[2:3], v[2:3], s[0:1]
	global_store_dwordx4 v[14:15], v[0:3], off
	global_load_dwordx4 v[0:3], v[12:13], off offset:160
	v_lshl_add_u64 v[14:15], v[14:15], 0, s[2:3]
	s_waitcnt vmcnt(0) lgkmcnt(0)
	v_mul_f64 v[4:5], v[10:11], v[2:3]
	v_mul_f64 v[2:3], v[8:9], v[2:3]
	v_fmac_f64_e32 v[4:5], v[8:9], v[0:1]
	v_fma_f64 v[2:3], v[0:1], v[10:11], -v[2:3]
	v_mul_f64 v[0:1], v[4:5], s[0:1]
	v_mul_f64 v[2:3], v[2:3], s[0:1]
	global_store_dwordx4 v[14:15], v[0:3], off
	global_load_dwordx4 v[0:3], v[12:13], off offset:2464
	ds_read_b128 v[4:7], v22 offset:10656
	ds_read_b128 v[8:11], v22 offset:12960
	v_add_co_u32_e32 v12, vcc, s4, v20
	v_lshl_add_u64 v[14:15], v[14:15], 0, s[2:3]
	s_nop 0
	v_addc_co_u32_e32 v13, vcc, 0, v21, vcc
	s_movk_i32 s4, 0x4000
	s_waitcnt vmcnt(0) lgkmcnt(1)
	v_mul_f64 v[16:17], v[6:7], v[2:3]
	v_mul_f64 v[2:3], v[4:5], v[2:3]
	v_fmac_f64_e32 v[16:17], v[4:5], v[0:1]
	v_fma_f64 v[2:3], v[0:1], v[6:7], -v[2:3]
	v_mul_f64 v[0:1], v[16:17], s[0:1]
	v_mul_f64 v[2:3], v[2:3], s[0:1]
	global_store_dwordx4 v[14:15], v[0:3], off
	global_load_dwordx4 v[0:3], v[12:13], off offset:672
	v_lshl_add_u64 v[14:15], v[14:15], 0, s[2:3]
	;; [unrolled: 26-line block ×3, first 2 shown]
	s_waitcnt vmcnt(0) lgkmcnt(0)
	v_mul_f64 v[4:5], v[10:11], v[2:3]
	v_mul_f64 v[2:3], v[8:9], v[2:3]
	v_fmac_f64_e32 v[4:5], v[8:9], v[0:1]
	v_fma_f64 v[2:3], v[0:1], v[10:11], -v[2:3]
	v_mul_f64 v[0:1], v[4:5], s[0:1]
	v_mul_f64 v[2:3], v[2:3], s[0:1]
	global_store_dwordx4 v[14:15], v[0:3], off
	global_load_dwordx4 v[0:3], v[12:13], off offset:3488
	ds_read_b128 v[4:7], v22 offset:19872
	ds_read_b128 v[8:11], v22 offset:22176
	v_add_co_u32_e32 v12, vcc, s4, v20
	v_lshl_add_u64 v[14:15], v[14:15], 0, s[2:3]
	s_nop 0
	v_addc_co_u32_e32 v13, vcc, 0, v21, vcc
	s_waitcnt vmcnt(0) lgkmcnt(1)
	v_mul_f64 v[16:17], v[6:7], v[2:3]
	v_mul_f64 v[2:3], v[4:5], v[2:3]
	v_fmac_f64_e32 v[16:17], v[4:5], v[0:1]
	v_fma_f64 v[2:3], v[0:1], v[6:7], -v[2:3]
	v_mul_f64 v[0:1], v[16:17], s[0:1]
	v_mul_f64 v[2:3], v[2:3], s[0:1]
	global_store_dwordx4 v[14:15], v[0:3], off
	global_load_dwordx4 v[0:3], v[12:13], off offset:1696
	s_waitcnt vmcnt(0) lgkmcnt(0)
	v_mul_f64 v[4:5], v[10:11], v[2:3]
	v_mul_f64 v[2:3], v[8:9], v[2:3]
	v_fmac_f64_e32 v[4:5], v[8:9], v[0:1]
	v_fma_f64 v[2:3], v[0:1], v[10:11], -v[2:3]
	v_mul_f64 v[0:1], v[4:5], s[0:1]
	v_mul_f64 v[2:3], v[2:3], s[0:1]
	v_lshl_add_u64 v[4:5], v[14:15], 0, s[2:3]
	global_store_dwordx4 v[4:5], v[0:3], off
.LBB0_31:
	s_endpgm
	.section	.rodata,"a",@progbits
	.p2align	6, 0x0
	.amdhsa_kernel bluestein_single_back_len1440_dim1_dp_op_CI_CI
		.amdhsa_group_segment_fixed_size 23040
		.amdhsa_private_segment_fixed_size 0
		.amdhsa_kernarg_size 104
		.amdhsa_user_sgpr_count 2
		.amdhsa_user_sgpr_dispatch_ptr 0
		.amdhsa_user_sgpr_queue_ptr 0
		.amdhsa_user_sgpr_kernarg_segment_ptr 1
		.amdhsa_user_sgpr_dispatch_id 0
		.amdhsa_user_sgpr_kernarg_preload_length 0
		.amdhsa_user_sgpr_kernarg_preload_offset 0
		.amdhsa_user_sgpr_private_segment_size 0
		.amdhsa_uses_dynamic_stack 0
		.amdhsa_enable_private_segment 0
		.amdhsa_system_sgpr_workgroup_id_x 1
		.amdhsa_system_sgpr_workgroup_id_y 0
		.amdhsa_system_sgpr_workgroup_id_z 0
		.amdhsa_system_sgpr_workgroup_info 0
		.amdhsa_system_vgpr_workitem_id 0
		.amdhsa_next_free_vgpr 366
		.amdhsa_next_free_sgpr 24
		.amdhsa_accum_offset 256
		.amdhsa_reserve_vcc 1
		.amdhsa_float_round_mode_32 0
		.amdhsa_float_round_mode_16_64 0
		.amdhsa_float_denorm_mode_32 3
		.amdhsa_float_denorm_mode_16_64 3
		.amdhsa_dx10_clamp 1
		.amdhsa_ieee_mode 1
		.amdhsa_fp16_overflow 0
		.amdhsa_tg_split 0
		.amdhsa_exception_fp_ieee_invalid_op 0
		.amdhsa_exception_fp_denorm_src 0
		.amdhsa_exception_fp_ieee_div_zero 0
		.amdhsa_exception_fp_ieee_overflow 0
		.amdhsa_exception_fp_ieee_underflow 0
		.amdhsa_exception_fp_ieee_inexact 0
		.amdhsa_exception_int_div_zero 0
	.end_amdhsa_kernel
	.text
.Lfunc_end0:
	.size	bluestein_single_back_len1440_dim1_dp_op_CI_CI, .Lfunc_end0-bluestein_single_back_len1440_dim1_dp_op_CI_CI
                                        ; -- End function
	.section	.AMDGPU.csdata,"",@progbits
; Kernel info:
; codeLenInByte = 21880
; NumSgprs: 30
; NumVgprs: 256
; NumAgprs: 110
; TotalNumVgprs: 366
; ScratchSize: 0
; MemoryBound: 0
; FloatMode: 240
; IeeeMode: 1
; LDSByteSize: 23040 bytes/workgroup (compile time only)
; SGPRBlocks: 3
; VGPRBlocks: 45
; NumSGPRsForWavesPerEU: 30
; NumVGPRsForWavesPerEU: 366
; AccumOffset: 256
; Occupancy: 1
; WaveLimiterHint : 1
; COMPUTE_PGM_RSRC2:SCRATCH_EN: 0
; COMPUTE_PGM_RSRC2:USER_SGPR: 2
; COMPUTE_PGM_RSRC2:TRAP_HANDLER: 0
; COMPUTE_PGM_RSRC2:TGID_X_EN: 1
; COMPUTE_PGM_RSRC2:TGID_Y_EN: 0
; COMPUTE_PGM_RSRC2:TGID_Z_EN: 0
; COMPUTE_PGM_RSRC2:TIDIG_COMP_CNT: 0
; COMPUTE_PGM_RSRC3_GFX90A:ACCUM_OFFSET: 63
; COMPUTE_PGM_RSRC3_GFX90A:TG_SPLIT: 0
	.text
	.p2alignl 6, 3212836864
	.fill 256, 4, 3212836864
	.type	__hip_cuid_3c5b8d10eea5772,@object ; @__hip_cuid_3c5b8d10eea5772
	.section	.bss,"aw",@nobits
	.globl	__hip_cuid_3c5b8d10eea5772
__hip_cuid_3c5b8d10eea5772:
	.byte	0                               ; 0x0
	.size	__hip_cuid_3c5b8d10eea5772, 1

	.ident	"AMD clang version 19.0.0git (https://github.com/RadeonOpenCompute/llvm-project roc-6.4.0 25133 c7fe45cf4b819c5991fe208aaa96edf142730f1d)"
	.section	".note.GNU-stack","",@progbits
	.addrsig
	.addrsig_sym __hip_cuid_3c5b8d10eea5772
	.amdgpu_metadata
---
amdhsa.kernels:
  - .agpr_count:     110
    .args:
      - .actual_access:  read_only
        .address_space:  global
        .offset:         0
        .size:           8
        .value_kind:     global_buffer
      - .actual_access:  read_only
        .address_space:  global
        .offset:         8
        .size:           8
        .value_kind:     global_buffer
      - .actual_access:  read_only
        .address_space:  global
        .offset:         16
        .size:           8
        .value_kind:     global_buffer
      - .actual_access:  read_only
        .address_space:  global
        .offset:         24
        .size:           8
        .value_kind:     global_buffer
      - .actual_access:  read_only
        .address_space:  global
        .offset:         32
        .size:           8
        .value_kind:     global_buffer
      - .offset:         40
        .size:           8
        .value_kind:     by_value
      - .address_space:  global
        .offset:         48
        .size:           8
        .value_kind:     global_buffer
      - .address_space:  global
        .offset:         56
        .size:           8
        .value_kind:     global_buffer
      - .address_space:  global
        .offset:         64
        .size:           8
        .value_kind:     global_buffer
      - .address_space:  global
        .offset:         72
        .size:           8
        .value_kind:     global_buffer
      - .offset:         80
        .size:           4
        .value_kind:     by_value
      - .address_space:  global
        .offset:         88
        .size:           8
        .value_kind:     global_buffer
      - .address_space:  global
        .offset:         96
        .size:           8
        .value_kind:     global_buffer
    .group_segment_fixed_size: 23040
    .kernarg_segment_align: 8
    .kernarg_segment_size: 104
    .language:       OpenCL C
    .language_version:
      - 2
      - 0
    .max_flat_workgroup_size: 90
    .name:           bluestein_single_back_len1440_dim1_dp_op_CI_CI
    .private_segment_fixed_size: 0
    .sgpr_count:     30
    .sgpr_spill_count: 0
    .symbol:         bluestein_single_back_len1440_dim1_dp_op_CI_CI.kd
    .uniform_work_group_size: 1
    .uses_dynamic_stack: false
    .vgpr_count:     366
    .vgpr_spill_count: 0
    .wavefront_size: 64
amdhsa.target:   amdgcn-amd-amdhsa--gfx950
amdhsa.version:
  - 1
  - 2
...

	.end_amdgpu_metadata
